;; amdgpu-corpus repo=ROCm/rocFFT kind=compiled arch=gfx1201 opt=O3
	.text
	.amdgcn_target "amdgcn-amd-amdhsa--gfx1201"
	.amdhsa_code_object_version 6
	.protected	bluestein_single_back_len1456_dim1_dp_op_CI_CI ; -- Begin function bluestein_single_back_len1456_dim1_dp_op_CI_CI
	.globl	bluestein_single_back_len1456_dim1_dp_op_CI_CI
	.p2align	8
	.type	bluestein_single_back_len1456_dim1_dp_op_CI_CI,@function
bluestein_single_back_len1456_dim1_dp_op_CI_CI: ; @bluestein_single_back_len1456_dim1_dp_op_CI_CI
; %bb.0:
	s_load_b128 s[8:11], s[0:1], 0x28
	v_mul_u32_u24_e32 v1, 0x169, v0
	s_mov_b32 s2, exec_lo
	v_mov_b32_e32 v4, 0
	s_delay_alu instid0(VALU_DEP_2) | instskip(NEXT) | instid1(VALU_DEP_1)
	v_lshrrev_b32_e32 v1, 16, v1
	v_add_nc_u32_e32 v3, ttmp9, v1
	s_delay_alu instid0(VALU_DEP_1)
	v_mov_b32_e32 v2, v3
	scratch_store_b64 off, v[2:3], off offset:4 ; 8-byte Folded Spill
	s_wait_kmcnt 0x0
	v_cmpx_gt_u64_e64 s[8:9], v[3:4]
	s_cbranch_execz .LBB0_23
; %bb.1:
	v_mul_lo_u16 v1, 0xb6, v1
	s_clause 0x1
	s_load_b64 s[12:13], s[0:1], 0x0
	s_load_b64 s[8:9], s[0:1], 0x38
	s_delay_alu instid0(VALU_DEP_1) | instskip(NEXT) | instid1(VALU_DEP_1)
	v_sub_nc_u16 v0, v0, v1
	v_and_b32_e32 v1, 0xffff, v0
	v_cmp_gt_u16_e32 vcc_lo, 0x70, v0
	s_delay_alu instid0(VALU_DEP_2)
	v_lshlrev_b32_e32 v255, 4, v1
	v_or_b32_e32 v0, 0x380, v1
	s_clause 0x1
	scratch_store_b32 off, v1, off
	scratch_store_b32 off, v0, off offset:36
	s_and_saveexec_b32 s3, vcc_lo
	s_cbranch_execz .LBB0_3
; %bb.2:
	s_clause 0x1
	scratch_load_b64 v[0:1], off, off offset:4
	scratch_load_b32 v7, off, off
	s_load_b64 s[4:5], s[0:1], 0x18
	s_wait_kmcnt 0x0
	s_load_b128 s[4:7], s[4:5], 0x0
	s_wait_loadcnt 0x1
	v_mov_b32_e32 v4, v0
	s_wait_loadcnt 0x0
	s_wait_kmcnt 0x0
	v_mad_co_u64_u32 v[2:3], null, s4, v7, 0
	s_delay_alu instid0(VALU_DEP_2) | instskip(NEXT) | instid1(VALU_DEP_1)
	v_mad_co_u64_u32 v[0:1], null, s6, v4, 0
	v_mad_co_u64_u32 v[4:5], null, s7, v4, v[1:2]
	s_mul_u64 s[6:7], s[4:5], 0x700
	s_delay_alu instid0(VALU_DEP_1) | instskip(SKIP_1) | instid1(VALU_DEP_1)
	v_mad_co_u64_u32 v[5:6], null, s5, v7, v[3:4]
	v_mov_b32_e32 v1, v4
	v_lshlrev_b64_e32 v[0:1], 4, v[0:1]
	s_delay_alu instid0(VALU_DEP_3) | instskip(NEXT) | instid1(VALU_DEP_2)
	v_mov_b32_e32 v3, v5
	v_add_co_u32 v26, s2, s10, v0
	s_delay_alu instid0(VALU_DEP_2) | instskip(NEXT) | instid1(VALU_DEP_4)
	v_lshlrev_b64_e32 v[2:3], 4, v[2:3]
	v_add_co_ci_u32_e64 v27, s2, s11, v1, s2
	v_or_b32_e32 v1, 0x380, v7
	s_delay_alu instid0(VALU_DEP_3) | instskip(SKIP_1) | instid1(VALU_DEP_3)
	v_add_co_u32 v44, s2, v26, v2
	s_wait_alu 0xf1ff
	v_add_co_ci_u32_e64 v45, s2, v27, v3, s2
	s_delay_alu instid0(VALU_DEP_3) | instskip(SKIP_4) | instid1(VALU_DEP_2)
	v_mad_co_u64_u32 v[16:17], null, s4, v1, 0
	s_wait_alu 0xfffe
	v_add_co_u32 v48, s2, v44, s6
	s_wait_alu 0xf1ff
	v_add_co_ci_u32_e64 v49, s2, s7, v45, s2
	v_add_co_u32 v52, s2, v48, s6
	s_delay_alu instid0(VALU_DEP_4) | instskip(SKIP_1) | instid1(VALU_DEP_3)
	v_mov_b32_e32 v0, v17
	s_wait_alu 0xf1ff
	v_add_co_ci_u32_e64 v53, s2, s7, v49, s2
	s_delay_alu instid0(VALU_DEP_3) | instskip(NEXT) | instid1(VALU_DEP_3)
	v_add_co_u32 v56, s2, v52, s6
	v_mad_co_u64_u32 v[8:9], null, s5, v1, v[0:1]
	s_wait_alu 0xf1ff
	s_delay_alu instid0(VALU_DEP_3) | instskip(NEXT) | instid1(VALU_DEP_3)
	v_add_co_ci_u32_e64 v57, s2, s7, v53, s2
	v_add_co_u32 v60, s2, v56, s6
	s_clause 0x1
	global_load_b128 v[0:3], v255, s[12:13]
	global_load_b128 v[4:7], v255, s[12:13] offset:1792
	s_wait_alu 0xf1ff
	v_add_co_ci_u32_e64 v61, s2, s7, v57, s2
	v_add_co_u32 v64, s2, v60, s6
	s_wait_alu 0xf1ff
	s_delay_alu instid0(VALU_DEP_2) | instskip(NEXT) | instid1(VALU_DEP_2)
	v_add_co_ci_u32_e64 v65, s2, s7, v61, s2
	v_add_co_u32 v68, s2, v64, s6
	s_wait_alu 0xf1ff
	s_delay_alu instid0(VALU_DEP_2) | instskip(NEXT) | instid1(VALU_DEP_2)
	v_add_co_ci_u32_e64 v69, s2, s7, v65, s2
	v_add_co_u32 v72, s2, v68, s6
	s_wait_alu 0xf1ff
	s_delay_alu instid0(VALU_DEP_2) | instskip(NEXT) | instid1(VALU_DEP_1)
	v_add_co_ci_u32_e64 v73, s2, s7, v69, s2
	v_mad_co_u64_u32 v[76:77], null, 0xe00, s4, v[72:73]
	v_mov_b32_e32 v17, v8
	s_clause 0x1
	global_load_b128 v[8:11], v255, s[12:13] offset:3584
	global_load_b128 v[12:15], v255, s[12:13] offset:5376
	v_mov_b32_e32 v46, v77
	v_lshlrev_b64_e32 v[24:25], 4, v[16:17]
	s_clause 0x1
	global_load_b128 v[16:19], v255, s[12:13] offset:7168
	global_load_b128 v[20:23], v255, s[12:13] offset:8960
	v_mad_co_u64_u32 v[74:75], null, 0xe00, s5, v[46:47]
	v_add_co_u32 v40, s2, v26, v24
	s_wait_alu 0xf1ff
	v_add_co_ci_u32_e64 v41, s2, v27, v25, s2
	v_add_co_u32 v80, s2, v76, s6
	s_delay_alu instid0(VALU_DEP_4)
	v_mov_b32_e32 v77, v74
	s_clause 0x3
	global_load_b128 v[24:27], v255, s[12:13] offset:10752
	global_load_b128 v[28:31], v255, s[12:13] offset:12544
	;; [unrolled: 1-line block ×4, first 2 shown]
	s_clause 0x5
	global_load_b128 v[40:43], v[40:41], off
	global_load_b128 v[44:47], v[44:45], off
	;; [unrolled: 1-line block ×9, first 2 shown]
	s_wait_alu 0xf1ff
	v_add_co_ci_u32_e64 v81, s2, s7, v77, s2
	v_add_co_u32 v92, s2, v80, s6
	global_load_b128 v[76:79], v[76:77], off
	s_wait_alu 0xf1ff
	v_add_co_ci_u32_e64 v93, s2, s7, v81, s2
	v_add_co_u32 v100, s2, v92, s6
	global_load_b128 v[80:83], v[80:81], off
	s_wait_alu 0xf1ff
	v_add_co_ci_u32_e64 v101, s2, s7, v93, s2
	s_clause 0x1
	global_load_b128 v[84:87], v255, s[12:13] offset:17920
	global_load_b128 v[88:91], v255, s[12:13] offset:19712
	global_load_b128 v[92:95], v[92:93], off
	global_load_b128 v[96:99], v255, s[12:13] offset:21504
	global_load_b128 v[100:103], v[100:101], off
	s_wait_loadcnt 0xe
	v_mul_f64_e32 v[104:105], v[46:47], v[2:3]
	v_mul_f64_e32 v[2:3], v[44:45], v[2:3]
	s_wait_loadcnt 0xd
	v_mul_f64_e32 v[108:109], v[50:51], v[6:7]
	v_mul_f64_e32 v[6:7], v[48:49], v[6:7]
	;; [unrolled: 3-line block ×3, first 2 shown]
	v_mul_f64_e32 v[34:35], v[40:41], v[34:35]
	v_mul_f64_e32 v[10:11], v[52:53], v[10:11]
	s_wait_loadcnt 0xb
	v_mul_f64_e32 v[112:113], v[58:59], v[14:15]
	v_mul_f64_e32 v[14:15], v[56:57], v[14:15]
	s_wait_loadcnt 0xa
	;; [unrolled: 3-line block ×9, first 2 shown]
	v_mul_f64_e32 v[130:131], v[102:103], v[98:99]
	v_mul_f64_e32 v[98:99], v[100:101], v[98:99]
	v_fma_f64 v[44:45], v[44:45], v[0:1], v[104:105]
	v_fma_f64 v[46:47], v[46:47], v[0:1], -v[2:3]
	v_fma_f64 v[30:31], v[48:49], v[4:5], v[108:109]
	v_fma_f64 v[0:1], v[40:41], v[32:33], v[106:107]
	v_fma_f64 v[2:3], v[42:43], v[32:33], -v[34:35]
	v_fma_f64 v[32:33], v[50:51], v[4:5], -v[6:7]
	v_fma_f64 v[4:5], v[52:53], v[8:9], v[110:111]
	v_fma_f64 v[6:7], v[54:55], v[8:9], -v[10:11]
	v_fma_f64 v[8:9], v[56:57], v[12:13], v[112:113]
	;; [unrolled: 2-line block ×10, first 2 shown]
	v_fma_f64 v[54:55], v[102:103], v[96:97], -v[98:99]
	ds_store_b128 v255, v[44:47]
	ds_store_b128 v255, v[30:33] offset:1792
	ds_store_b128 v255, v[4:7] offset:3584
	;; [unrolled: 1-line block ×12, first 2 shown]
.LBB0_3:
	s_or_b32 exec_lo, exec_lo, s3
	s_clause 0x1
	s_load_b64 s[4:5], s[0:1], 0x20
	s_load_b64 s[2:3], s[0:1], 0x8
	global_wb scope:SCOPE_SE
	s_wait_storecnt_dscnt 0x0
	s_wait_kmcnt 0x0
	s_barrier_signal -1
	s_barrier_wait -1
	global_inv scope:SCOPE_SE
                                        ; implicit-def: $vgpr0_vgpr1
                                        ; implicit-def: $vgpr28_vgpr29
                                        ; implicit-def: $vgpr40_vgpr41
                                        ; implicit-def: $vgpr24_vgpr25
                                        ; implicit-def: $vgpr20_vgpr21
                                        ; implicit-def: $vgpr16_vgpr17
                                        ; implicit-def: $vgpr12_vgpr13
                                        ; implicit-def: $vgpr8_vgpr9
                                        ; implicit-def: $vgpr4_vgpr5
                                        ; implicit-def: $vgpr44_vgpr45
                                        ; implicit-def: $vgpr48_vgpr49
                                        ; implicit-def: $vgpr36_vgpr37
                                        ; implicit-def: $vgpr32_vgpr33
	s_and_saveexec_b32 s0, vcc_lo
	s_cbranch_execz .LBB0_5
; %bb.4:
	ds_load_b128 v[0:3], v255
	ds_load_b128 v[32:35], v255 offset:1792
	ds_load_b128 v[36:39], v255 offset:3584
	;; [unrolled: 1-line block ×12, first 2 shown]
.LBB0_5:
	s_wait_alu 0xfffe
	s_or_b32 exec_lo, exec_lo, s0
	s_wait_dscnt 0x0
	v_add_f64_e64 v[58:59], v[34:35], -v[6:7]
	s_mov_b32 s10, 0x4267c47c
	s_mov_b32 s11, 0xbfddbe06
	v_add_f64_e64 v[62:63], v[32:33], -v[4:5]
	v_add_f64_e32 v[56:57], v[4:5], v[32:33]
	v_add_f64_e64 v[66:67], v[38:39], -v[10:11]
	s_mov_b32 s0, 0xe00740e9
	s_mov_b32 s6, 0x42a4c3d2
	;; [unrolled: 1-line block ×6, first 2 shown]
	v_add_f64_e32 v[60:61], v[6:7], v[34:35]
	v_add_f64_e64 v[64:65], v[36:37], -v[8:9]
	v_add_f64_e64 v[94:95], v[30:31], -v[14:15]
	v_add_f64_e32 v[52:53], v[8:9], v[36:37]
	s_mov_b32 s16, 0x1ea71119
	s_mov_b32 s24, 0x2ef20147
	;; [unrolled: 1-line block ×8, first 2 shown]
	v_add_f64_e64 v[92:93], v[28:29], -v[12:13]
	v_add_f64_e32 v[54:55], v[10:11], v[38:39]
	v_add_f64_e32 v[98:99], v[28:29], v[12:13]
	v_add_f64_e64 v[136:137], v[42:43], -v[18:19]
	s_mov_b32 s22, 0xb2365da1
	s_mov_b32 s20, 0x93053d00
	;; [unrolled: 1-line block ×8, first 2 shown]
	v_add_f64_e32 v[102:103], v[30:31], v[14:15]
	v_add_f64_e64 v[128:129], v[40:41], -v[16:17]
	s_wait_alu 0xfffe
	v_mul_f64_e32 v[68:69], s[10:11], v[58:59]
	v_mul_f64_e32 v[108:109], s[6:7], v[58:59]
	;; [unrolled: 1-line block ×9, first 2 shown]
	v_add_f64_e32 v[110:111], v[40:41], v[16:17]
	v_add_f64_e64 v[160:161], v[50:51], -v[22:23]
	v_mul_f64_e32 v[215:216], s[24:25], v[58:59]
	v_mul_f64_e32 v[227:228], s[24:25], v[62:63]
	;; [unrolled: 1-line block ×9, first 2 shown]
	s_mov_b32 s26, 0xd0032e0c
	s_mov_b32 s41, 0x3fe5384d
	;; [unrolled: 1-line block ×4, first 2 shown]
	v_mul_f64_e32 v[106:107], s[14:15], v[92:93]
	v_mul_f64_e32 v[146:147], s[28:29], v[92:93]
	;; [unrolled: 1-line block ×4, first 2 shown]
	s_mov_b32 s39, 0x3fddbe06
	s_mov_b32 s40, s34
	;; [unrolled: 1-line block ×4, first 2 shown]
	v_add_f64_e32 v[114:115], v[42:43], v[18:19]
	v_add_f64_e64 v[148:149], v[48:49], -v[20:21]
	v_mul_f64_e32 v[239:240], s[34:35], v[62:63]
	v_add_f64_e32 v[134:135], v[20:21], v[48:49]
	v_add_f64_e64 v[217:218], v[46:47], -v[26:27]
	v_mul_f64_e32 v[118:119], s[24:25], v[128:129]
	v_fma_f64 v[72:73], v[56:57], s[0:1], v[68:69]
	v_fma_f64 v[76:77], v[56:57], s[16:17], v[108:109]
	;; [unrolled: 1-line block ×3, first 2 shown]
	v_fma_f64 v[74:75], v[60:61], s[0:1], -v[70:71]
	v_fma_f64 v[78:79], v[60:61], s[16:17], -v[112:113]
	v_fma_f64 v[82:83], v[52:53], s[16:17], v[96:97]
	v_fma_f64 v[84:85], v[60:61], s[18:19], -v[162:163]
	v_fma_f64 v[90:91], v[52:53], s[22:23], v[124:125]
	v_fma_f64 v[152:153], v[52:53], s[20:21], v[120:121]
	v_mul_f64_e32 v[189:190], s[40:41], v[136:137]
	v_mul_f64_e32 v[140:141], s[34:35], v[160:161]
	;; [unrolled: 1-line block ×4, first 2 shown]
	v_fma_f64 v[86:87], v[54:55], s[16:17], -v[100:101]
	v_fma_f64 v[88:89], v[98:99], s[18:19], v[104:105]
	v_fma_f64 v[150:151], v[54:55], s[22:23], -v[126:127]
	v_fma_f64 v[156:157], v[54:55], s[20:21], -v[122:123]
	v_mul_f64_e32 v[179:180], s[38:39], v[128:129]
	v_fma_f64 v[175:176], v[98:99], s[22:23], v[130:131]
	v_mul_f64_e32 v[170:171], s[40:41], v[66:67]
	v_mul_f64_e32 v[173:174], s[40:41], v[64:65]
	v_fma_f64 v[197:198], v[60:61], s[22:23], -v[227:228]
	v_mul_f64_e32 v[164:165], s[36:37], v[66:67]
	v_fma_f64 v[199:200], v[56:57], s[26:27], v[237:238]
	v_fma_f64 v[158:159], v[102:103], s[18:19], -v[106:107]
	v_add_f64_e32 v[138:139], v[22:23], v[50:51]
	v_fma_f64 v[185:186], v[102:103], s[22:23], -v[132:133]
	v_add_f64_e64 v[203:204], v[44:45], -v[24:25]
	v_mul_f64_e32 v[166:167], s[36:37], v[64:65]
	v_mul_f64_e32 v[209:210], s[36:37], v[160:161]
	;; [unrolled: 1-line block ×6, first 2 shown]
	v_fma_f64 v[201:202], v[60:61], s[26:27], -v[239:240]
	v_mul_f64_e32 v[219:220], s[36:37], v[148:149]
	v_mul_f64_e32 v[193:194], s[6:7], v[148:149]
	v_fma_f64 v[191:192], v[114:115], s[22:23], -v[118:119]
	v_add_f64_e32 v[72:73], v[0:1], v[72:73]
	v_add_f64_e32 v[76:77], v[0:1], v[76:77]
	;; [unrolled: 1-line block ×5, first 2 shown]
	v_mul_f64_e32 v[168:169], s[6:7], v[94:95]
	v_add_f64_e32 v[84:85], v[2:3], v[84:85]
	s_mov_b32 s45, 0x3fcea1e5
	s_mov_b32 s44, s28
	v_fma_f64 v[211:212], v[110:111], s[26:27], v[189:190]
	v_fma_f64 v[205:206], v[134:135], s[26:27], v[140:141]
	s_clause 0x1
	scratch_store_b64 off, v[68:69], off offset:16
	scratch_store_b64 off, v[70:71], off offset:24
	v_mul_f64_e32 v[229:230], s[38:39], v[217:218]
	v_mul_f64_e32 v[207:208], s[34:35], v[217:218]
	s_mov_b32 s43, 0x3fea55e2
	s_mov_b32 s42, s6
	v_fma_f64 v[221:222], v[114:115], s[0:1], -v[179:180]
	v_fma_f64 v[225:226], v[54:55], s[26:27], -v[173:174]
	v_add_f64_e32 v[197:198], v[2:3], v[197:198]
	v_fma_f64 v[231:232], v[52:53], s[18:19], v[164:165]
	v_add_f64_e32 v[235:236], v[0:1], v[199:200]
	v_mul_f64_e32 v[199:200], s[14:15], v[136:137]
	v_mul_f64_e32 v[233:234], s[38:39], v[203:204]
	v_fma_f64 v[241:242], v[54:55], s[18:19], -v[166:167]
	v_mul_f64_e32 v[213:214], s[34:35], v[203:204]
	v_fma_f64 v[247:248], v[134:135], s[18:19], v[209:210]
	v_fma_f64 v[251:252], v[98:99], s[0:1], v[181:182]
	v_fma_f64 v[253:254], v[102:103], s[0:1], -v[183:184]
	v_fma_f64 v[223:224], v[138:139], s[26:27], -v[144:145]
	v_add_f64_e32 v[243:244], v[2:3], v[201:202]
	v_mul_f64_e32 v[201:202], s[14:15], v[128:129]
	v_add_f64_e32 v[72:73], v[82:83], v[72:73]
	v_fma_f64 v[82:83], v[110:111], s[22:23], v[116:117]
	v_add_f64_e32 v[76:77], v[90:91], v[76:77]
	v_add_f64_e32 v[74:75], v[86:87], v[74:75]
	v_fma_f64 v[86:87], v[98:99], s[20:21], v[142:143]
	v_fma_f64 v[90:91], v[102:103], s[20:21], -v[146:147]
	v_add_f64_e32 v[78:79], v[150:151], v[78:79]
	v_add_f64_e32 v[80:81], v[152:153], v[80:81]
	;; [unrolled: 1-line block ×4, first 2 shown]
	v_mul_f64_e32 v[152:153], s[28:29], v[217:218]
	v_add_f64_e32 v[156:157], v[26:27], v[46:47]
	v_fma_f64 v[68:69], v[98:99], s[16:17], v[168:169]
	v_add_f64_e32 v[225:226], v[225:226], v[197:198]
	v_mul_f64_e32 v[197:198], s[38:39], v[160:161]
	v_add_f64_e32 v[231:232], v[231:232], v[235:236]
	v_add_f64_e32 v[241:242], v[241:242], v[243:244]
	;; [unrolled: 1-line block ×3, first 2 shown]
	v_fma_f64 v[88:89], v[56:57], s[22:23], v[215:216]
	v_add_f64_e32 v[74:75], v[158:159], v[74:75]
	v_add_f64_e32 v[76:77], v[86:87], v[76:77]
	v_fma_f64 v[86:87], v[114:115], s[26:27], -v[195:196]
	v_add_f64_e32 v[78:79], v[90:91], v[78:79]
	v_fma_f64 v[90:91], v[110:111], s[0:1], v[177:178]
	v_add_f64_e32 v[80:81], v[175:176], v[80:81]
	v_add_f64_e32 v[84:85], v[185:186], v[84:85]
	v_mul_f64_e32 v[158:159], s[28:29], v[203:204]
	v_mul_f64_e32 v[175:176], s[6:7], v[92:93]
	;; [unrolled: 1-line block ×3, first 2 shown]
	v_fma_f64 v[245:246], v[150:151], s[20:21], v[152:153]
	v_fma_f64 v[243:244], v[150:151], s[0:1], v[229:230]
	v_add_f64_e32 v[68:69], v[68:69], v[231:232]
	v_mul_f64_e32 v[231:232], s[42:43], v[217:218]
	v_add_f64_e32 v[72:73], v[82:83], v[72:73]
	v_fma_f64 v[82:83], v[52:53], s[26:27], v[170:171]
	v_add_f64_e32 v[88:89], v[0:1], v[88:89]
	v_add_f64_e32 v[74:75], v[191:192], v[74:75]
	;; [unrolled: 1-line block ×3, first 2 shown]
	v_fma_f64 v[211:212], v[138:139], s[18:19], -v[219:220]
	v_add_f64_e32 v[78:79], v[86:87], v[78:79]
	v_fma_f64 v[86:87], v[134:135], s[16:17], v[187:188]
	v_add_f64_e32 v[80:81], v[90:91], v[80:81]
	v_fma_f64 v[90:91], v[138:139], s[16:17], -v[193:194]
	v_add_f64_e32 v[84:85], v[221:222], v[84:85]
	v_fma_f64 v[249:250], v[156:157], s[20:21], -v[158:159]
	v_mul_f64_e32 v[191:192], s[44:45], v[128:129]
	v_fma_f64 v[235:236], v[102:103], s[16:17], -v[175:176]
	v_mul_f64_e32 v[221:222], s[44:45], v[160:161]
	v_add_f64_e32 v[72:73], v[205:206], v[72:73]
	v_mul_f64_e32 v[205:206], s[38:39], v[148:149]
	v_add_f64_e32 v[88:89], v[82:83], v[88:89]
	v_add_f64_e32 v[74:75], v[223:224], v[74:75]
	;; [unrolled: 1-line block ×3, first 2 shown]
	v_fma_f64 v[247:248], v[150:151], s[26:27], v[207:208]
	v_add_f64_e32 v[78:79], v[211:212], v[78:79]
	v_fma_f64 v[211:212], v[156:157], s[0:1], -v[233:234]
	v_add_f64_e32 v[86:87], v[86:87], v[80:81]
	v_mul_f64_e32 v[223:224], s[44:45], v[148:149]
	v_add_f64_e32 v[84:85], v[90:91], v[84:85]
	v_fma_f64 v[90:91], v[156:157], s[26:27], -v[213:214]
	v_fma_f64 v[70:71], v[114:115], s[20:21], -v[191:192]
	v_add_f64_e32 v[241:242], v[235:236], v[241:242]
	v_mul_f64_e32 v[235:236], s[42:43], v[203:204]
	v_add_f64_e32 v[80:81], v[245:246], v[72:73]
	v_fma_f64 v[245:246], v[110:111], s[18:19], v[199:200]
	v_add_f64_e32 v[88:89], v[251:252], v[88:89]
	v_add_f64_e32 v[251:252], v[253:254], v[225:226]
	v_fma_f64 v[253:254], v[110:111], s[20:21], v[185:186]
	v_add_f64_e32 v[82:83], v[249:250], v[74:75]
	v_fma_f64 v[249:250], v[114:115], s[18:19], -v[201:202]
	v_add_f64_e32 v[76:77], v[243:244], v[76:77]
	v_add_f64_e32 v[78:79], v[211:212], v[78:79]
	v_mul_f64_e32 v[211:212], s[24:25], v[217:218]
	v_add_f64_e32 v[72:73], v[247:248], v[86:87]
	v_add_f64_e32 v[74:75], v[90:91], v[84:85]
	v_fma_f64 v[84:85], v[134:135], s[20:21], v[221:222]
	v_fma_f64 v[243:244], v[134:135], s[0:1], v[197:198]
	v_add_f64_e32 v[70:71], v[70:71], v[241:242]
	v_fma_f64 v[241:242], v[150:151], s[16:17], v[231:232]
	v_mul_f64_e32 v[225:226], s[24:25], v[203:204]
	v_add_f64_e32 v[86:87], v[245:246], v[88:89]
	v_fma_f64 v[88:89], v[138:139], s[20:21], -v[223:224]
	v_add_f64_e32 v[68:69], v[253:254], v[68:69]
	v_fma_f64 v[245:246], v[138:139], s[0:1], -v[205:206]
	v_add_f64_e32 v[90:91], v[249:250], v[251:252]
	v_fma_f64 v[247:248], v[150:151], s[22:23], v[211:212]
	v_add_f64_e32 v[84:85], v[84:85], v[86:87]
	v_fma_f64 v[86:87], v[156:157], s[16:17], -v[235:236]
	v_add_f64_e32 v[68:69], v[243:244], v[68:69]
	v_fma_f64 v[243:244], v[156:157], s[22:23], -v[225:226]
	v_add_f64_e32 v[90:91], v[88:89], v[90:91]
	v_add_f64_e32 v[70:71], v[245:246], v[70:71]
	;; [unrolled: 1-line block ×4, first 2 shown]
	scratch_load_b32 v68, off, off          ; 4-byte Folded Reload
	v_add_f64_e32 v[90:91], v[86:87], v[90:91]
	v_add_f64_e32 v[86:87], v[243:244], v[70:71]
	s_wait_loadcnt 0x0
	v_mul_lo_u16 v68, v68, 13
	scratch_store_b32 off, v68, off offset:12 ; 4-byte Folded Spill
	global_wb scope:SCOPE_SE
	s_wait_storecnt 0x0
	s_barrier_signal -1
	s_barrier_wait -1
	global_inv scope:SCOPE_SE
	s_and_saveexec_b32 s33, vcc_lo
	s_cbranch_execz .LBB0_7
; %bb.6:
	v_add_f64_e32 v[34:35], v[2:3], v[34:35]
	v_add_f64_e32 v[32:33], v[0:1], v[32:33]
	s_delay_alu instid0(VALU_DEP_2) | instskip(NEXT) | instid1(VALU_DEP_2)
	v_add_f64_e32 v[34:35], v[38:39], v[34:35]
	v_add_f64_e32 v[32:33], v[36:37], v[32:33]
	scratch_load_b64 v[36:37], off, off offset:16 th:TH_LOAD_LU ; 8-byte Folded Reload
	v_add_f64_e32 v[30:31], v[30:31], v[34:35]
	v_add_f64_e32 v[28:29], v[28:29], v[32:33]
	v_mul_f64_e32 v[34:35], s[0:1], v[56:57]
	s_delay_alu instid0(VALU_DEP_3) | instskip(NEXT) | instid1(VALU_DEP_3)
	v_add_f64_e32 v[30:31], v[42:43], v[30:31]
	v_add_f64_e32 v[28:29], v[40:41], v[28:29]
	s_delay_alu instid0(VALU_DEP_2) | instskip(NEXT) | instid1(VALU_DEP_2)
	v_add_f64_e32 v[30:31], v[50:51], v[30:31]
	v_add_f64_e32 v[28:29], v[48:49], v[28:29]
	v_mul_f64_e32 v[50:51], s[36:37], v[217:218]
	s_delay_alu instid0(VALU_DEP_3) | instskip(NEXT) | instid1(VALU_DEP_3)
	v_add_f64_e32 v[30:31], v[46:47], v[30:31]
	v_add_f64_e32 v[28:29], v[44:45], v[28:29]
	s_delay_alu instid0(VALU_DEP_2)
	v_add_f64_e32 v[26:27], v[26:27], v[30:31]
	scratch_load_b64 v[30:31], off, off offset:24 th:TH_LOAD_LU ; 8-byte Folded Reload
	v_add_f64_e32 v[24:25], v[24:25], v[28:29]
	v_mul_f64_e32 v[28:29], s[0:1], v[60:61]
	v_add_f64_e32 v[22:23], v[22:23], v[26:27]
	v_mul_f64_e32 v[26:27], s[16:17], v[56:57]
	s_delay_alu instid0(VALU_DEP_4) | instskip(SKIP_1) | instid1(VALU_DEP_4)
	v_add_f64_e32 v[20:21], v[20:21], v[24:25]
	v_mul_f64_e32 v[24:25], s[16:17], v[60:61]
	v_add_f64_e32 v[18:19], v[18:19], v[22:23]
	v_mul_f64_e32 v[22:23], s[18:19], v[56:57]
	s_delay_alu instid0(VALU_DEP_4)
	v_add_f64_e32 v[16:17], v[16:17], v[20:21]
	v_mul_f64_e32 v[20:21], s[18:19], v[60:61]
	v_add_f64_e64 v[26:27], v[26:27], -v[108:109]
	v_add_f64_e32 v[24:25], v[112:113], v[24:25]
	v_add_f64_e32 v[14:15], v[14:15], v[18:19]
	v_mul_f64_e32 v[18:19], s[22:23], v[56:57]
	v_add_f64_e32 v[12:13], v[12:13], v[16:17]
	v_mul_f64_e32 v[16:17], s[22:23], v[60:61]
	v_add_f64_e32 v[20:21], v[162:163], v[20:21]
	v_add_f64_e64 v[22:23], v[22:23], -v[154:155]
	s_wait_loadcnt 0x1
	v_add_f64_e64 v[34:35], v[34:35], -v[36:37]
	v_add_f64_e32 v[10:11], v[10:11], v[14:15]
	v_mul_f64_e32 v[14:15], s[26:27], v[56:57]
	v_add_f64_e32 v[8:9], v[8:9], v[12:13]
	v_add_f64_e32 v[16:17], v[227:228], v[16:17]
	v_mul_f64_e32 v[12:13], s[26:27], v[60:61]
	v_add_f64_e64 v[18:19], v[18:19], -v[215:216]
	v_add_f64_e32 v[34:35], v[0:1], v[34:35]
	v_add_f64_e32 v[6:7], v[6:7], v[10:11]
	v_add_f64_e64 v[14:15], v[14:15], -v[237:238]
	v_add_f64_e32 v[4:5], v[4:5], v[8:9]
	v_mul_f64_e32 v[8:9], s[20:21], v[60:61]
	v_add_f64_e32 v[40:41], v[2:3], v[16:17]
	v_add_f64_e32 v[16:17], v[2:3], v[20:21]
	v_mul_f64_e32 v[20:21], s[0:1], v[54:55]
	v_add_f64_e32 v[12:13], v[239:240], v[12:13]
	v_add_f64_e32 v[42:43], v[0:1], v[18:19]
	;; [unrolled: 1-line block ×3, first 2 shown]
	v_mul_f64_e32 v[22:23], s[26:27], v[102:103]
	v_add_f64_e32 v[38:39], v[0:1], v[14:15]
	v_add_f64_e32 v[14:15], v[0:1], v[26:27]
	v_fma_f64 v[10:11], v[62:63], s[44:45], v[8:9]
	v_fma_f64 v[8:9], v[62:63], s[28:29], v[8:9]
	v_add_f64_e32 v[36:37], v[2:3], v[12:13]
	v_add_f64_e32 v[12:13], v[2:3], v[24:25]
	v_fma_f64 v[24:25], v[92:93], s[40:41], v[22:23]
	v_fma_f64 v[22:23], v[92:93], s[34:35], v[22:23]
	v_add_f64_e32 v[10:11], v[2:3], v[10:11]
	v_add_f64_e32 v[8:9], v[2:3], v[8:9]
	s_wait_loadcnt 0x0
	v_add_f64_e32 v[28:29], v[30:31], v[28:29]
	v_mul_f64_e32 v[30:31], s[28:29], v[58:59]
	s_delay_alu instid0(VALU_DEP_2) | instskip(NEXT) | instid1(VALU_DEP_2)
	v_add_f64_e32 v[28:29], v[2:3], v[28:29]
	v_fma_f64 v[32:33], v[56:57], s[20:21], v[30:31]
	v_fma_f64 v[30:31], v[56:57], s[20:21], -v[30:31]
	v_mul_f64_e32 v[56:57], s[18:19], v[156:157]
	s_delay_alu instid0(VALU_DEP_3) | instskip(NEXT) | instid1(VALU_DEP_3)
	v_add_f64_e32 v[32:33], v[0:1], v[32:33]
	v_add_f64_e32 v[30:31], v[0:1], v[30:31]
	v_fma_f64 v[0:1], v[64:65], s[10:11], v[20:21]
	v_fma_f64 v[20:21], v[64:65], s[38:39], v[20:21]
	s_delay_alu instid0(VALU_DEP_2) | instskip(SKIP_1) | instid1(VALU_DEP_3)
	v_add_f64_e32 v[0:1], v[0:1], v[10:11]
	v_mul_f64_e32 v[10:11], s[38:39], v[66:67]
	v_add_f64_e32 v[8:9], v[20:21], v[8:9]
	s_delay_alu instid0(VALU_DEP_3) | instskip(NEXT) | instid1(VALU_DEP_3)
	v_add_f64_e32 v[0:1], v[24:25], v[0:1]
	v_fma_f64 v[2:3], v[52:53], s[0:1], v[10:11]
	v_mul_f64_e32 v[24:25], s[34:35], v[94:95]
	v_fma_f64 v[10:11], v[52:53], s[0:1], -v[10:11]
	v_add_f64_e32 v[8:9], v[22:23], v[8:9]
	v_fma_f64 v[22:23], v[150:151], s[18:19], -v[50:51]
	v_add_f64_e32 v[2:3], v[2:3], v[32:33]
	v_fma_f64 v[26:27], v[98:99], s[26:27], v[24:25]
	v_add_f64_e32 v[10:11], v[10:11], v[30:31]
	v_fma_f64 v[20:21], v[98:99], s[26:27], -v[24:25]
	v_mul_f64_e32 v[24:25], s[20:21], v[102:103]
	v_mul_f64_e32 v[30:31], s[26:27], v[114:115]
	v_add_f64_e32 v[2:3], v[26:27], v[2:3]
	v_mul_f64_e32 v[26:27], s[16:17], v[114:115]
	v_add_f64_e32 v[10:11], v[20:21], v[10:11]
	v_add_f64_e32 v[24:25], v[146:147], v[24:25]
	;; [unrolled: 1-line block ×3, first 2 shown]
	s_delay_alu instid0(VALU_DEP_4) | instskip(SKIP_1) | instid1(VALU_DEP_2)
	v_fma_f64 v[32:33], v[128:129], s[6:7], v[26:27]
	v_fma_f64 v[26:27], v[128:129], s[42:43], v[26:27]
	v_add_f64_e32 v[0:1], v[32:33], v[0:1]
	v_mul_f64_e32 v[32:33], s[42:43], v[136:137]
	s_delay_alu instid0(VALU_DEP_3) | instskip(SKIP_1) | instid1(VALU_DEP_3)
	v_add_f64_e32 v[8:9], v[26:27], v[8:9]
	v_mul_f64_e32 v[26:27], s[20:21], v[98:99]
	v_fma_f64 v[44:45], v[110:111], s[16:17], v[32:33]
	v_fma_f64 v[20:21], v[110:111], s[16:17], -v[32:33]
	s_delay_alu instid0(VALU_DEP_3) | instskip(SKIP_1) | instid1(VALU_DEP_4)
	v_add_f64_e64 v[26:27], v[26:27], -v[142:143]
	v_mul_f64_e32 v[32:33], s[26:27], v[110:111]
	v_add_f64_e32 v[2:3], v[44:45], v[2:3]
	v_mul_f64_e32 v[44:45], s[22:23], v[138:139]
	v_add_f64_e32 v[10:11], v[20:21], v[10:11]
	s_delay_alu instid0(VALU_DEP_4) | instskip(NEXT) | instid1(VALU_DEP_3)
	v_add_f64_e64 v[32:33], v[32:33], -v[189:190]
	v_fma_f64 v[46:47], v[148:149], s[30:31], v[44:45]
	v_fma_f64 v[44:45], v[148:149], s[24:25], v[44:45]
	s_delay_alu instid0(VALU_DEP_2) | instskip(SKIP_1) | instid1(VALU_DEP_3)
	v_add_f64_e32 v[0:1], v[46:47], v[0:1]
	v_mul_f64_e32 v[46:47], s[24:25], v[160:161]
	v_add_f64_e32 v[8:9], v[44:45], v[8:9]
	v_mul_f64_e32 v[44:45], s[18:19], v[138:139]
	s_delay_alu instid0(VALU_DEP_3) | instskip(SKIP_1) | instid1(VALU_DEP_3)
	v_fma_f64 v[48:49], v[134:135], s[22:23], v[46:47]
	v_fma_f64 v[20:21], v[134:135], s[22:23], -v[46:47]
	v_add_f64_e32 v[44:45], v[219:220], v[44:45]
	s_delay_alu instid0(VALU_DEP_3) | instskip(SKIP_1) | instid1(VALU_DEP_4)
	v_add_f64_e32 v[48:49], v[48:49], v[2:3]
	v_fma_f64 v[2:3], v[203:204], s[14:15], v[56:57]
	v_add_f64_e32 v[20:21], v[20:21], v[10:11]
	s_delay_alu instid0(VALU_DEP_2) | instskip(SKIP_1) | instid1(VALU_DEP_1)
	v_add_f64_e32 v[2:3], v[2:3], v[0:1]
	v_fma_f64 v[0:1], v[150:151], s[18:19], v[50:51]
	v_add_f64_e32 v[0:1], v[0:1], v[48:49]
	v_fma_f64 v[48:49], v[203:204], s[36:37], v[56:57]
	s_delay_alu instid0(VALU_DEP_1) | instskip(SKIP_3) | instid1(VALU_DEP_2)
	v_add_f64_e32 v[10:11], v[48:49], v[8:9]
	v_add_f64_e32 v[8:9], v[22:23], v[20:21]
	v_mul_f64_e32 v[20:21], s[22:23], v[54:55]
	v_mul_f64_e32 v[22:23], s[22:23], v[52:53]
	v_add_f64_e32 v[20:21], v[126:127], v[20:21]
	s_delay_alu instid0(VALU_DEP_2) | instskip(NEXT) | instid1(VALU_DEP_2)
	v_add_f64_e64 v[22:23], v[22:23], -v[124:125]
	v_add_f64_e32 v[12:13], v[20:21], v[12:13]
	s_delay_alu instid0(VALU_DEP_2) | instskip(SKIP_2) | instid1(VALU_DEP_4)
	v_add_f64_e32 v[14:15], v[22:23], v[14:15]
	v_mul_f64_e32 v[20:21], s[18:19], v[134:135]
	v_mul_f64_e32 v[22:23], s[0:1], v[156:157]
	v_add_f64_e32 v[12:13], v[24:25], v[12:13]
	s_delay_alu instid0(VALU_DEP_4) | instskip(NEXT) | instid1(VALU_DEP_4)
	v_add_f64_e32 v[14:15], v[26:27], v[14:15]
	v_add_f64_e64 v[20:21], v[20:21], -v[209:210]
	v_mul_f64_e32 v[24:25], s[0:1], v[150:151]
	v_add_f64_e32 v[22:23], v[233:234], v[22:23]
	v_mul_f64_e32 v[26:27], s[22:23], v[98:99]
	v_add_f64_e32 v[12:13], v[30:31], v[12:13]
	v_add_f64_e32 v[14:15], v[32:33], v[14:15]
	v_mul_f64_e32 v[30:31], s[0:1], v[114:115]
	v_add_f64_e64 v[24:25], v[24:25], -v[229:230]
	v_mul_f64_e32 v[32:33], s[0:1], v[110:111]
	v_add_f64_e64 v[26:27], v[26:27], -v[130:131]
	v_add_f64_e32 v[12:13], v[44:45], v[12:13]
	v_add_f64_e32 v[20:21], v[20:21], v[14:15]
	;; [unrolled: 1-line block ×3, first 2 shown]
	v_mul_f64_e32 v[44:45], s[16:17], v[138:139]
	v_add_f64_e64 v[32:33], v[32:33], -v[177:178]
	v_add_f64_e32 v[14:15], v[22:23], v[12:13]
	v_add_f64_e32 v[12:13], v[24:25], v[20:21]
	v_mul_f64_e32 v[20:21], s[20:21], v[54:55]
	v_mul_f64_e32 v[22:23], s[20:21], v[52:53]
	;; [unrolled: 1-line block ×3, first 2 shown]
	v_add_f64_e32 v[44:45], v[193:194], v[44:45]
	s_delay_alu instid0(VALU_DEP_4) | instskip(NEXT) | instid1(VALU_DEP_4)
	v_add_f64_e32 v[20:21], v[122:123], v[20:21]
	v_add_f64_e64 v[22:23], v[22:23], -v[120:121]
	s_delay_alu instid0(VALU_DEP_4) | instskip(NEXT) | instid1(VALU_DEP_3)
	v_add_f64_e32 v[24:25], v[132:133], v[24:25]
	v_add_f64_e32 v[16:17], v[20:21], v[16:17]
	s_delay_alu instid0(VALU_DEP_3) | instskip(SKIP_2) | instid1(VALU_DEP_4)
	v_add_f64_e32 v[18:19], v[22:23], v[18:19]
	v_mul_f64_e32 v[20:21], s[16:17], v[134:135]
	v_mul_f64_e32 v[22:23], s[26:27], v[156:157]
	v_add_f64_e32 v[16:17], v[24:25], v[16:17]
	s_delay_alu instid0(VALU_DEP_4) | instskip(NEXT) | instid1(VALU_DEP_4)
	v_add_f64_e32 v[18:19], v[26:27], v[18:19]
	v_add_f64_e64 v[20:21], v[20:21], -v[187:188]
	v_mul_f64_e32 v[24:25], s[26:27], v[150:151]
	v_add_f64_e32 v[22:23], v[213:214], v[22:23]
	v_mul_f64_e32 v[26:27], s[0:1], v[98:99]
	v_add_f64_e32 v[16:17], v[30:31], v[16:17]
	v_add_f64_e32 v[18:19], v[32:33], v[18:19]
	v_mul_f64_e32 v[30:31], s[18:19], v[114:115]
	v_add_f64_e64 v[24:25], v[24:25], -v[207:208]
	v_mul_f64_e32 v[32:33], s[18:19], v[110:111]
	v_add_f64_e64 v[26:27], v[26:27], -v[181:182]
	v_add_f64_e32 v[16:17], v[44:45], v[16:17]
	v_add_f64_e32 v[20:21], v[20:21], v[18:19]
	;; [unrolled: 1-line block ×3, first 2 shown]
	v_mul_f64_e32 v[44:45], s[20:21], v[138:139]
	v_add_f64_e64 v[32:33], v[32:33], -v[199:200]
	v_add_f64_e32 v[18:19], v[22:23], v[16:17]
	v_add_f64_e32 v[16:17], v[24:25], v[20:21]
	v_mul_f64_e32 v[20:21], s[26:27], v[54:55]
	v_mul_f64_e32 v[22:23], s[26:27], v[52:53]
	;; [unrolled: 1-line block ×3, first 2 shown]
	v_add_f64_e32 v[44:45], v[223:224], v[44:45]
	s_delay_alu instid0(VALU_DEP_4) | instskip(NEXT) | instid1(VALU_DEP_4)
	v_add_f64_e32 v[20:21], v[173:174], v[20:21]
	v_add_f64_e64 v[22:23], v[22:23], -v[170:171]
	s_delay_alu instid0(VALU_DEP_4) | instskip(NEXT) | instid1(VALU_DEP_3)
	v_add_f64_e32 v[24:25], v[183:184], v[24:25]
	v_add_f64_e32 v[20:21], v[20:21], v[40:41]
	s_delay_alu instid0(VALU_DEP_3) | instskip(SKIP_2) | instid1(VALU_DEP_4)
	v_add_f64_e32 v[22:23], v[22:23], v[42:43]
	v_mul_f64_e32 v[40:41], s[20:21], v[134:135]
	v_mul_f64_e32 v[42:43], s[20:21], v[110:111]
	v_add_f64_e32 v[20:21], v[24:25], v[20:21]
	s_delay_alu instid0(VALU_DEP_4) | instskip(NEXT) | instid1(VALU_DEP_4)
	v_add_f64_e32 v[22:23], v[26:27], v[22:23]
	v_add_f64_e64 v[40:41], v[40:41], -v[221:222]
	v_mul_f64_e32 v[24:25], s[16:17], v[156:157]
	v_mul_f64_e32 v[26:27], s[16:17], v[150:151]
	v_add_f64_e64 v[42:43], v[42:43], -v[185:186]
	v_add_f64_e32 v[20:21], v[30:31], v[20:21]
	v_add_f64_e32 v[22:23], v[32:33], v[22:23]
	v_mul_f64_e32 v[32:33], s[16:17], v[98:99]
	v_add_f64_e32 v[24:25], v[235:236], v[24:25]
	v_add_f64_e64 v[26:27], v[26:27], -v[231:232]
	v_add_f64_e32 v[20:21], v[44:45], v[20:21]
	v_add_f64_e32 v[30:31], v[40:41], v[22:23]
	v_add_f64_e64 v[32:33], v[32:33], -v[168:169]
	v_mul_f64_e32 v[40:41], s[20:21], v[114:115]
	v_mul_f64_e32 v[44:45], s[0:1], v[138:139]
	v_add_f64_e32 v[22:23], v[24:25], v[20:21]
	v_add_f64_e32 v[20:21], v[26:27], v[30:31]
	v_mul_f64_e32 v[24:25], s[18:19], v[54:55]
	v_mul_f64_e32 v[26:27], s[18:19], v[52:53]
	;; [unrolled: 1-line block ×3, first 2 shown]
	v_add_f64_e32 v[40:41], v[191:192], v[40:41]
	v_add_f64_e32 v[44:45], v[205:206], v[44:45]
	;; [unrolled: 1-line block ×3, first 2 shown]
	v_add_f64_e64 v[26:27], v[26:27], -v[164:165]
	v_add_f64_e32 v[30:31], v[175:176], v[30:31]
	s_delay_alu instid0(VALU_DEP_3) | instskip(NEXT) | instid1(VALU_DEP_3)
	v_add_f64_e32 v[24:25], v[24:25], v[36:37]
	v_add_f64_e32 v[26:27], v[26:27], v[38:39]
	v_mul_f64_e32 v[36:37], s[0:1], v[134:135]
	v_mul_f64_e32 v[38:39], s[18:19], v[98:99]
	s_delay_alu instid0(VALU_DEP_4) | instskip(NEXT) | instid1(VALU_DEP_4)
	v_add_f64_e32 v[24:25], v[30:31], v[24:25]
	v_add_f64_e32 v[26:27], v[32:33], v[26:27]
	s_delay_alu instid0(VALU_DEP_4)
	v_add_f64_e64 v[36:37], v[36:37], -v[197:198]
	v_mul_f64_e32 v[30:31], s[22:23], v[156:157]
	v_mul_f64_e32 v[32:33], s[22:23], v[150:151]
	v_add_f64_e64 v[38:39], v[38:39], -v[104:105]
	v_add_f64_e32 v[24:25], v[40:41], v[24:25]
	v_add_f64_e32 v[26:27], v[42:43], v[26:27]
	v_mul_f64_e32 v[40:41], s[22:23], v[114:115]
	v_add_f64_e32 v[30:31], v[225:226], v[30:31]
	v_add_f64_e64 v[32:33], v[32:33], -v[211:212]
	v_mul_f64_e32 v[42:43], s[22:23], v[110:111]
	v_add_f64_e32 v[24:25], v[44:45], v[24:25]
	v_add_f64_e32 v[36:37], v[36:37], v[26:27]
	;; [unrolled: 1-line block ×3, first 2 shown]
	v_mul_f64_e32 v[44:45], s[26:27], v[138:139]
	v_add_f64_e64 v[42:43], v[42:43], -v[116:117]
	v_add_f64_e32 v[26:27], v[30:31], v[24:25]
	v_add_f64_e32 v[24:25], v[32:33], v[36:37]
	v_mul_f64_e32 v[30:31], s[16:17], v[54:55]
	v_mul_f64_e32 v[32:33], s[16:17], v[52:53]
	;; [unrolled: 1-line block ×3, first 2 shown]
	v_add_f64_e32 v[44:45], v[144:145], v[44:45]
	s_delay_alu instid0(VALU_DEP_4) | instskip(NEXT) | instid1(VALU_DEP_4)
	v_add_f64_e32 v[30:31], v[100:101], v[30:31]
	v_add_f64_e64 v[32:33], v[32:33], -v[96:97]
	s_delay_alu instid0(VALU_DEP_4) | instskip(NEXT) | instid1(VALU_DEP_3)
	v_add_f64_e32 v[36:37], v[106:107], v[36:37]
	v_add_f64_e32 v[28:29], v[30:31], v[28:29]
	s_delay_alu instid0(VALU_DEP_3) | instskip(SKIP_2) | instid1(VALU_DEP_4)
	v_add_f64_e32 v[30:31], v[32:33], v[34:35]
	v_mul_f64_e32 v[32:33], s[26:27], v[134:135]
	v_mul_f64_e32 v[34:35], s[20:21], v[156:157]
	v_add_f64_e32 v[28:29], v[36:37], v[28:29]
	s_delay_alu instid0(VALU_DEP_4) | instskip(NEXT) | instid1(VALU_DEP_4)
	v_add_f64_e32 v[30:31], v[38:39], v[30:31]
	v_add_f64_e64 v[32:33], v[32:33], -v[140:141]
	v_mul_f64_e32 v[36:37], s[20:21], v[150:151]
	v_add_f64_e32 v[34:35], v[158:159], v[34:35]
	v_add_f64_e32 v[28:29], v[40:41], v[28:29]
	;; [unrolled: 1-line block ×3, first 2 shown]
	s_delay_alu instid0(VALU_DEP_4) | instskip(NEXT) | instid1(VALU_DEP_3)
	v_add_f64_e64 v[36:37], v[36:37], -v[152:153]
	v_add_f64_e32 v[28:29], v[44:45], v[28:29]
	s_delay_alu instid0(VALU_DEP_3) | instskip(NEXT) | instid1(VALU_DEP_2)
	v_add_f64_e32 v[32:33], v[32:33], v[30:31]
	v_add_f64_e32 v[30:31], v[34:35], v[28:29]
	s_delay_alu instid0(VALU_DEP_2) | instskip(SKIP_3) | instid1(VALU_DEP_1)
	v_add_f64_e32 v[28:29], v[36:37], v[32:33]
	scratch_load_b32 v32, off, off offset:12 ; 4-byte Folded Reload
	s_wait_loadcnt 0x0
	v_and_b32_e32 v32, 0xffff, v32
	v_lshlrev_b32_e32 v32, 4, v32
	ds_store_b128 v32, v[12:15] offset:32
	ds_store_b128 v32, v[16:19] offset:48
	;; [unrolled: 1-line block ×11, first 2 shown]
	ds_store_b128 v32, v[4:7]
	ds_store_b128 v32, v[80:83] offset:192
.LBB0_7:
	s_or_b32 exec_lo, exec_lo, s33
	scratch_load_b32 v124, off, off         ; 4-byte Folded Reload
	s_load_b128 s[4:7], s[4:5], 0x0
	global_wb scope:SCOPE_SE
	s_wait_loadcnt_dscnt 0x0
	s_wait_kmcnt 0x0
	s_barrier_signal -1
	s_barrier_wait -1
	global_inv scope:SCOPE_SE
	v_and_b32_e32 v1, 0xff, v124
	v_add_nc_u16 v0, v124, 0xb6
	s_delay_alu instid0(VALU_DEP_2) | instskip(NEXT) | instid1(VALU_DEP_2)
	v_mul_lo_u16 v2, 0x4f, v1
	v_and_b32_e32 v1, 0xffff, v0
	s_delay_alu instid0(VALU_DEP_2) | instskip(NEXT) | instid1(VALU_DEP_2)
	v_lshrrev_b16 v23, 10, v2
	v_mul_u32_u24_e32 v1, 0x4ec5, v1
	s_delay_alu instid0(VALU_DEP_2) | instskip(NEXT) | instid1(VALU_DEP_2)
	v_mul_lo_u16 v3, v23, 13
	v_lshrrev_b32_e32 v96, 18, v1
	v_and_b32_e32 v23, 0xffff, v23
	s_delay_alu instid0(VALU_DEP_3) | instskip(NEXT) | instid1(VALU_DEP_3)
	v_sub_nc_u16 v3, v124, v3
	v_mul_lo_u16 v4, v96, 13
	s_delay_alu instid0(VALU_DEP_3) | instskip(NEXT) | instid1(VALU_DEP_3)
	v_mul_u32_u24_e32 v23, 52, v23
	v_and_b32_e32 v97, 0xff, v3
	s_delay_alu instid0(VALU_DEP_3) | instskip(NEXT) | instid1(VALU_DEP_2)
	v_sub_nc_u16 v98, v0, v4
	v_mad_co_u64_u32 v[3:4], null, v97, 48, s[2:3]
	s_delay_alu instid0(VALU_DEP_2) | instskip(NEXT) | instid1(VALU_DEP_1)
	v_mul_lo_u16 v5, v98, 48
	v_and_b32_e32 v5, 0xffff, v5
	global_load_b128 v[28:31], v[3:4], off
	v_add_co_u32 v5, s0, s2, v5
	s_wait_alu 0xf1ff
	v_add_co_ci_u32_e64 v6, null, s3, 0, s0
	s_clause 0x4
	global_load_b128 v[32:35], v[3:4], off offset:16
	global_load_b128 v[24:27], v[3:4], off offset:32
	global_load_b128 v[44:47], v[5:6], off
	global_load_b128 v[40:43], v[5:6], off offset:16
	global_load_b128 v[36:39], v[5:6], off offset:32
	ds_load_b128 v[3:6], v255 offset:5824
	ds_load_b128 v[7:10], v255 offset:11648
	;; [unrolled: 1-line block ×6, first 2 shown]
	v_cmp_gt_u16_e64 s0, 26, v124
                                        ; implicit-def: $vgpr124_vgpr125
	s_wait_loadcnt_dscnt 0x505
	v_mul_f64_e32 v[52:53], v[5:6], v[30:31]
	v_mul_f64_e32 v[54:55], v[3:4], v[30:31]
	s_wait_loadcnt_dscnt 0x404
	v_mul_f64_e32 v[56:57], v[9:10], v[34:35]
	v_mul_f64_e32 v[58:59], v[7:8], v[34:35]
	;; [unrolled: 3-line block ×6, first 2 shown]
	v_fma_f64 v[52:53], v[3:4], v[28:29], -v[52:53]
	v_fma_f64 v[54:55], v[5:6], v[28:29], v[54:55]
	v_fma_f64 v[56:57], v[7:8], v[32:33], -v[56:57]
	v_fma_f64 v[58:59], v[9:10], v[32:33], v[58:59]
	;; [unrolled: 2-line block ×6, first 2 shown]
	ds_load_b128 v[3:6], v255
	ds_load_b128 v[7:10], v255 offset:2912
	global_wb scope:SCOPE_SE
	s_wait_dscnt 0x0
	s_barrier_signal -1
	s_barrier_wait -1
	global_inv scope:SCOPE_SE
	v_add_f64_e64 v[56:57], v[3:4], -v[56:57]
	v_add_f64_e64 v[58:59], v[5:6], -v[58:59]
	;; [unrolled: 1-line block ×8, first 2 shown]
	v_fma_f64 v[48:49], v[3:4], 2.0, -v[56:57]
	v_fma_f64 v[50:51], v[5:6], 2.0, -v[58:59]
	;; [unrolled: 1-line block ×4, first 2 shown]
	v_add_f64_e64 v[3:4], v[56:57], -v[13:14]
	v_fma_f64 v[54:55], v[7:8], 2.0, -v[60:61]
	v_fma_f64 v[64:65], v[9:10], 2.0, -v[62:63]
	;; [unrolled: 1-line block ×4, first 2 shown]
	v_add_f64_e64 v[92:93], v[60:61], -v[21:22]
	v_add_f64_e32 v[94:95], v[62:63], v[19:20]
	v_add_f64_e64 v[7:8], v[48:49], -v[5:6]
	v_add_f64_e64 v[9:10], v[50:51], -v[52:53]
	v_add_f64_e32 v[5:6], v[58:59], v[11:12]
	v_add_f64_e64 v[11:12], v[54:55], -v[15:16]
	v_add_f64_e64 v[13:14], v[64:65], -v[17:18]
	v_fma_f64 v[15:16], v[56:57], 2.0, -v[3:4]
	v_mad_u16 v56, v96, 52, v98
	v_add_lshl_u32 v57, v23, v97, 4
	s_delay_alu instid0(VALU_DEP_2) | instskip(NEXT) | instid1(VALU_DEP_1)
	v_and_b32_e32 v56, 0xffff, v56
	v_lshlrev_b32_e32 v23, 4, v56
	v_fma_f64 v[19:20], v[48:49], 2.0, -v[7:8]
	v_fma_f64 v[21:22], v[50:51], 2.0, -v[9:10]
	;; [unrolled: 1-line block ×5, first 2 shown]
	ds_store_b128 v57, v[7:10] offset:416
	ds_store_b128 v57, v[3:6] offset:624
	ds_store_b128 v57, v[19:22]
	v_fma_f64 v[52:53], v[54:55], 2.0, -v[11:12]
	v_fma_f64 v[54:55], v[64:65], 2.0, -v[13:14]
	scratch_store_b32 off, v57, off offset:24 ; 4-byte Folded Spill
	ds_store_b128 v57, v[15:18] offset:208
	ds_store_b128 v23, v[11:14] offset:416
	;; [unrolled: 1-line block ×3, first 2 shown]
	ds_store_b128 v23, v[52:55]
	scratch_store_b32 off, v23, off offset:16 ; 4-byte Folded Spill
	ds_store_b128 v23, v[48:51] offset:208
	global_wb scope:SCOPE_SE
	s_wait_storecnt_dscnt 0x0
	s_barrier_signal -1
	s_barrier_wait -1
	global_inv scope:SCOPE_SE
	ds_load_b128 v[96:99], v255
	ds_load_b128 v[116:119], v255 offset:3328
	ds_load_b128 v[112:115], v255 offset:6656
	;; [unrolled: 1-line block ×6, first 2 shown]
	s_and_saveexec_b32 s1, s0
	s_cbranch_execz .LBB0_9
; %bb.8:
	ds_load_b128 v[92:95], v255 offset:2912
	ds_load_b128 v[84:87], v255 offset:6240
	;; [unrolled: 1-line block ×7, first 2 shown]
.LBB0_9:
	s_wait_alu 0xfffe
	s_or_b32 exec_lo, exec_lo, s1
	scratch_load_b32 v3, off, off           ; 4-byte Folded Reload
	v_lshrrev_b16 v128, 12, v2
	v_lshrrev_b32_e32 v1, 20, v1
	s_mov_b32 s10, 0x37e14327
	s_mov_b32 s14, 0x36b3c0b5
	;; [unrolled: 1-line block ×3, first 2 shown]
	v_mul_lo_u16 v2, v128, 52
	v_mul_lo_u16 v1, v1, 52
	s_mov_b32 s18, 0x429ad128
	s_mov_b32 s11, 0x3fe948f6
	;; [unrolled: 1-line block ×4, first 2 shown]
	v_sub_nc_u16 v130, v0, v1
	s_mov_b32 s19, 0x3febfeb5
	s_mov_b32 s20, 0xaaaaaaaa
	;; [unrolled: 1-line block ×4, first 2 shown]
	v_mul_lo_u16 v0, 0x60, v130
	s_mov_b32 s23, 0x3fd5d0dc
	s_mov_b32 s25, 0xbfd5d0dc
	s_wait_alu 0xfffe
	s_mov_b32 s24, s22
	v_and_b32_e32 v128, 0xffff, v128
	v_and_b32_e32 v0, 0xffff, v0
	;; [unrolled: 1-line block ×3, first 2 shown]
	s_delay_alu instid0(VALU_DEP_3) | instskip(NEXT) | instid1(VALU_DEP_3)
	v_mul_u32_u24_e32 v128, 0x16c, v128
	v_add_co_u32 v14, s1, s2, v0
	s_wait_alu 0xf1ff
	v_add_co_ci_u32_e64 v15, null, s3, 0, s1
	s_wait_loadcnt 0x0
	v_sub_nc_u16 v2, v3, v2
	s_delay_alu instid0(VALU_DEP_1) | instskip(NEXT) | instid1(VALU_DEP_1)
	v_and_b32_e32 v129, 0xff, v2
	v_mad_co_u64_u32 v[12:13], null, 0x60, v129, s[2:3]
	s_clause 0xb
	global_load_b128 v[60:63], v[12:13], off offset:624
	global_load_b128 v[56:59], v[12:13], off offset:640
	global_load_b128 v[52:55], v[12:13], off offset:704
	global_load_b128 v[48:51], v[12:13], off offset:688
	global_load_b128 v[4:7], v[14:15], off offset:624
	global_load_b128 v[0:3], v[14:15], off offset:640
	global_load_b128 v[8:11], v[14:15], off offset:704
	global_load_b128 v[20:23], v[14:15], off offset:688
	global_load_b128 v[68:71], v[12:13], off offset:656
	global_load_b128 v[64:67], v[12:13], off offset:672
	global_load_b128 v[16:19], v[14:15], off offset:656
	global_load_b128 v[12:15], v[14:15], off offset:672
	scratch_store_b32 off, v130, off offset:32 ; 4-byte Folded Spill
	global_wb scope:SCOPE_SE
	s_wait_storecnt 0x0
	s_wait_loadcnt_dscnt 0x0
	s_barrier_signal -1
	s_barrier_wait -1
	global_inv scope:SCOPE_SE
	v_mul_f64_e32 v[147:148], v[86:87], v[6:7]
	v_mul_f64_e32 v[149:150], v[84:85], v[6:7]
	;; [unrolled: 1-line block ×20, first 2 shown]
	v_fma_f64 v[84:85], v[84:85], v[4:5], -v[147:148]
	v_fma_f64 v[86:87], v[86:87], v[4:5], v[149:150]
	v_fma_f64 v[88:89], v[88:89], v[0:1], -v[151:152]
	v_fma_f64 v[116:117], v[116:117], v[60:61], -v[131:132]
	v_fma_f64 v[118:119], v[118:119], v[60:61], v[133:134]
	v_fma_f64 v[112:113], v[112:113], v[56:57], -v[135:136]
	v_fma_f64 v[114:115], v[114:115], v[56:57], v[137:138]
	;; [unrolled: 2-line block ×4, first 2 shown]
	v_mul_f64_e32 v[131:132], v[74:75], v[18:19]
	v_mul_f64_e32 v[133:134], v[72:73], v[18:19]
	;; [unrolled: 1-line block ×4, first 2 shown]
	v_fma_f64 v[90:91], v[90:91], v[0:1], v[153:154]
	v_fma_f64 v[124:125], v[124:125], v[8:9], -v[155:156]
	v_fma_f64 v[126:127], v[126:127], v[8:9], v[157:158]
	v_fma_f64 v[80:81], v[80:81], v[20:21], -v[159:160]
	;; [unrolled: 2-line block ×4, first 2 shown]
	v_fma_f64 v[102:103], v[102:103], v[64:65], v[169:170]
	v_add_f64_e32 v[139:140], v[116:117], v[120:121]
	v_add_f64_e32 v[141:142], v[118:119], v[122:123]
	;; [unrolled: 1-line block ×4, first 2 shown]
	v_fma_f64 v[72:73], v[72:73], v[16:17], -v[131:132]
	v_fma_f64 v[74:75], v[74:75], v[16:17], v[133:134]
	v_fma_f64 v[76:77], v[76:77], v[12:13], -v[135:136]
	v_fma_f64 v[78:79], v[78:79], v[12:13], v[137:138]
	v_add_f64_e64 v[108:109], v[112:113], -v[108:109]
	v_add_f64_e32 v[131:132], v[84:85], v[124:125]
	v_add_f64_e32 v[133:134], v[86:87], v[126:127]
	;; [unrolled: 1-line block ×4, first 2 shown]
	v_add_f64_e64 v[110:111], v[114:115], -v[110:111]
	v_add_f64_e64 v[80:81], v[88:89], -v[80:81]
	v_add_f64_e32 v[147:148], v[104:105], v[100:101]
	v_add_f64_e32 v[149:150], v[106:107], v[102:103]
	v_add_f64_e64 v[100:101], v[100:101], -v[104:105]
	v_add_f64_e64 v[102:103], v[102:103], -v[106:107]
	;; [unrolled: 1-line block ×7, first 2 shown]
	v_add_f64_e32 v[112:113], v[143:144], v[139:140]
	v_add_f64_e32 v[114:115], v[145:146], v[141:142]
	;; [unrolled: 1-line block ×4, first 2 shown]
	v_add_f64_e64 v[72:73], v[76:77], -v[72:73]
	v_add_f64_e64 v[74:75], v[78:79], -v[74:75]
	v_add_f64_e32 v[76:77], v[135:136], v[131:132]
	v_add_f64_e32 v[78:79], v[137:138], v[133:134]
	v_add_f64_e64 v[116:117], v[139:140], -v[147:148]
	v_add_f64_e64 v[118:119], v[141:142], -v[149:150]
	;; [unrolled: 1-line block ×12, first 2 shown]
	v_add_f64_e32 v[108:109], v[100:101], v[108:109]
	v_add_f64_e32 v[110:111], v[102:103], v[110:111]
	v_add_f64_e64 v[100:101], v[104:105], -v[100:101]
	v_add_f64_e64 v[102:103], v[106:107], -v[102:103]
	v_add_f64_e32 v[112:113], v[147:148], v[112:113]
	v_add_f64_e32 v[114:115], v[149:150], v[114:115]
	v_add_f64_e64 v[147:148], v[131:132], -v[88:89]
	v_add_f64_e64 v[149:150], v[133:134], -v[90:91]
	;; [unrolled: 1-line block ×4, first 2 shown]
	v_add_f64_e32 v[80:81], v[72:73], v[80:81]
	v_add_f64_e32 v[163:164], v[88:89], v[76:77]
	;; [unrolled: 1-line block ×3, first 2 shown]
	v_add_f64_e64 v[88:89], v[88:89], -v[135:136]
	v_add_f64_e64 v[90:91], v[90:91], -v[137:138]
	v_add_f64_e32 v[82:83], v[74:75], v[82:83]
	v_mul_f64_e32 v[116:117], s[10:11], v[116:117]
	v_mul_f64_e32 v[118:119], s[10:11], v[118:119]
	;; [unrolled: 1-line block ×10, first 2 shown]
	v_add_f64_e32 v[104:105], v[108:109], v[104:105]
	v_add_f64_e32 v[106:107], v[110:111], v[106:107]
	;; [unrolled: 1-line block ×4, first 2 shown]
	v_add_f64_e64 v[96:97], v[84:85], -v[72:73]
	v_add_f64_e64 v[98:99], v[86:87], -v[74:75]
	v_mul_f64_e32 v[147:148], s[10:11], v[147:148]
	v_mul_f64_e32 v[149:150], s[10:11], v[149:150]
	;; [unrolled: 1-line block ×4, first 2 shown]
	s_mov_b32 s10, 0x5476071b
	v_add_f64_e32 v[72:73], v[92:93], v[163:164]
	v_add_f64_e32 v[74:75], v[94:95], v[165:166]
	v_add_f64_e64 v[92:93], v[135:136], -v[131:132]
	v_add_f64_e64 v[94:95], v[137:138], -v[133:134]
	v_mul_f64_e32 v[131:132], s[14:15], v[88:89]
	v_mul_f64_e32 v[133:134], s[14:15], v[90:91]
	s_mov_b32 s11, 0x3fe77f67
	s_mov_b32 s17, 0xbfe77f67
	s_wait_alu 0xfffe
	s_mov_b32 s16, s10
	v_add_f64_e32 v[80:81], v[80:81], v[84:85]
	v_add_f64_e32 v[82:83], v[82:83], v[86:87]
	v_fma_f64 v[84:85], v[120:121], s[14:15], v[116:117]
	v_fma_f64 v[86:87], v[122:123], s[14:15], v[118:119]
	v_fma_f64 v[108:109], v[139:140], s[10:11], -v[143:144]
	v_fma_f64 v[110:111], v[141:142], s[10:11], -v[145:146]
	v_fma_f64 v[120:121], v[100:101], s[22:23], v[124:125]
	v_fma_f64 v[122:123], v[102:103], s[22:23], v[126:127]
	v_fma_f64 v[124:125], v[151:152], s[18:19], -v[124:125]
	v_fma_f64 v[126:127], v[153:154], s[18:19], -v[126:127]
	;; [unrolled: 1-line block ×4, first 2 shown]
	s_wait_alu 0xfffe
	v_fma_f64 v[116:117], v[139:140], s[16:17], -v[116:117]
	v_fma_f64 v[118:119], v[141:142], s[16:17], -v[118:119]
	v_fma_f64 v[112:113], v[112:113], s[20:21], v[76:77]
	v_fma_f64 v[114:115], v[114:115], s[20:21], v[78:79]
	;; [unrolled: 1-line block ×6, first 2 shown]
	v_fma_f64 v[139:140], v[159:160], s[18:19], -v[155:156]
	v_fma_f64 v[141:142], v[161:162], s[18:19], -v[157:158]
	;; [unrolled: 1-line block ×4, first 2 shown]
	v_fma_f64 v[143:144], v[163:164], s[20:21], v[72:73]
	v_fma_f64 v[145:146], v[165:166], s[20:21], v[74:75]
	v_fma_f64 v[147:148], v[92:93], s[16:17], -v[147:148]
	v_fma_f64 v[149:150], v[94:95], s[16:17], -v[149:150]
	;; [unrolled: 1-line block ×4, first 2 shown]
	s_mov_b32 s10, 0x37c3f68c
	s_mov_b32 s11, 0x3fdc38aa
	v_add_lshl_u32 v172, v128, v129, 4
	s_wait_alu 0xfffe
	v_fma_f64 v[131:132], v[104:105], s[10:11], v[120:121]
	v_fma_f64 v[133:134], v[106:107], s[10:11], v[122:123]
	;; [unrolled: 1-line block ×6, first 2 shown]
	v_add_f64_e32 v[104:105], v[84:85], v[112:113]
	v_add_f64_e32 v[106:107], v[86:87], v[114:115]
	;; [unrolled: 1-line block ×6, first 2 shown]
	v_fma_f64 v[135:136], v[80:81], s[10:11], v[135:136]
	v_fma_f64 v[137:138], v[82:83], s[10:11], v[137:138]
	;; [unrolled: 1-line block ×6, first 2 shown]
	v_add_f64_e32 v[151:152], v[88:89], v[143:144]
	v_add_f64_e32 v[153:154], v[90:91], v[145:146]
	;; [unrolled: 1-line block ×7, first 2 shown]
	v_add_f64_e64 v[82:83], v[106:107], -v[131:132]
	v_add_f64_e32 v[84:85], v[102:103], v[116:117]
	v_add_f64_e64 v[86:87], v[118:119], -v[100:101]
	v_add_f64_e64 v[88:89], v[108:109], -v[122:123]
	v_add_f64_e32 v[90:91], v[120:121], v[110:111]
	v_add_f64_e32 v[92:93], v[122:123], v[108:109]
	v_add_f64_e64 v[94:95], v[110:111], -v[120:121]
	v_add_f64_e64 v[120:121], v[116:117], -v[102:103]
	v_add_f64_e32 v[122:123], v[100:101], v[118:119]
	v_add_f64_e64 v[124:125], v[104:105], -v[133:134]
	v_add_f64_e32 v[126:127], v[131:132], v[106:107]
	v_add_f64_e32 v[116:117], v[137:138], v[151:152]
	v_add_f64_e64 v[118:119], v[153:154], -v[135:136]
	v_add_f64_e32 v[112:113], v[98:99], v[147:148]
	v_add_f64_e64 v[114:115], v[149:150], -v[96:97]
	v_add_f64_e64 v[108:109], v[143:144], -v[141:142]
	v_add_f64_e32 v[110:111], v[139:140], v[145:146]
	v_add_f64_e32 v[104:105], v[141:142], v[143:144]
	v_add_f64_e64 v[106:107], v[145:146], -v[139:140]
	v_add_f64_e64 v[100:101], v[147:148], -v[98:99]
	v_add_f64_e32 v[102:103], v[96:97], v[149:150]
	v_add_f64_e64 v[96:97], v[151:152], -v[137:138]
	v_add_f64_e32 v[98:99], v[135:136], v[153:154]
	ds_store_b128 v172, v[76:79]
	ds_store_b128 v172, v[80:83] offset:832
	ds_store_b128 v172, v[84:87] offset:1664
	;; [unrolled: 1-line block ×6, first 2 shown]
	s_and_saveexec_b32 s1, s0
	s_cbranch_execz .LBB0_11
; %bb.10:
	scratch_load_b32 v76, off, off offset:32 ; 4-byte Folded Reload
	s_wait_loadcnt 0x0
	v_lshlrev_b32_e32 v76, 4, v76
	ds_store_b128 v76, v[72:75] offset:17472
	ds_store_b128 v76, v[116:119] offset:18304
	;; [unrolled: 1-line block ×7, first 2 shown]
.LBB0_11:
	s_wait_alu 0xfffe
	s_or_b32 exec_lo, exec_lo, s1
	global_wb scope:SCOPE_SE
	s_wait_dscnt 0x0
	s_barrier_signal -1
	s_barrier_wait -1
	global_inv scope:SCOPE_SE
	s_clause 0x1
	global_load_b128 v[72:75], v255, s[2:3] offset:5616
	global_load_b128 v[76:79], v255, s[2:3] offset:8528
	ds_load_b128 v[80:83], v255 offset:11648
	ds_load_b128 v[84:87], v255 offset:14560
	;; [unrolled: 1-line block ×4, first 2 shown]
	s_wait_loadcnt_dscnt 0x103
	v_mul_f64_e32 v[120:121], v[82:83], v[74:75]
	v_mul_f64_e32 v[122:123], v[80:81], v[74:75]
	s_wait_loadcnt_dscnt 0x2
	v_mul_f64_e32 v[124:125], v[86:87], v[78:79]
	v_mul_f64_e32 v[126:127], v[84:85], v[78:79]
	s_wait_dscnt 0x1
	v_mul_f64_e32 v[128:129], v[90:91], v[74:75]
	v_mul_f64_e32 v[130:131], v[88:89], v[74:75]
	s_wait_dscnt 0x0
	v_mul_f64_e32 v[132:133], v[94:95], v[78:79]
	v_mul_f64_e32 v[134:135], v[92:93], v[78:79]
	v_fma_f64 v[120:121], v[80:81], v[72:73], -v[120:121]
	v_fma_f64 v[122:123], v[82:83], v[72:73], v[122:123]
	v_fma_f64 v[124:125], v[84:85], v[76:77], -v[124:125]
	v_fma_f64 v[126:127], v[86:87], v[76:77], v[126:127]
	;; [unrolled: 2-line block ×4, first 2 shown]
	ds_load_b128 v[80:83], v255
	ds_load_b128 v[84:87], v255 offset:2912
	ds_load_b128 v[88:91], v255 offset:5824
	;; [unrolled: 1-line block ×3, first 2 shown]
	global_wb scope:SCOPE_SE
	s_wait_dscnt 0x0
	s_barrier_signal -1
	s_barrier_wait -1
	global_inv scope:SCOPE_SE
	v_add_f64_e64 v[120:121], v[80:81], -v[120:121]
	v_add_f64_e64 v[122:123], v[82:83], -v[122:123]
	v_add_f64_e64 v[124:125], v[84:85], -v[124:125]
	v_add_f64_e64 v[126:127], v[86:87], -v[126:127]
	v_add_f64_e64 v[128:129], v[88:89], -v[128:129]
	v_add_f64_e64 v[130:131], v[90:91], -v[130:131]
	v_add_f64_e64 v[132:133], v[92:93], -v[132:133]
	v_add_f64_e64 v[134:135], v[94:95], -v[134:135]
	v_fma_f64 v[80:81], v[80:81], 2.0, -v[120:121]
	v_fma_f64 v[82:83], v[82:83], 2.0, -v[122:123]
	;; [unrolled: 1-line block ×8, first 2 shown]
	ds_store_b128 v255, v[120:123] offset:5824
	ds_store_b128 v255, v[124:127] offset:8736
	;; [unrolled: 1-line block ×4, first 2 shown]
	ds_store_b128 v255, v[80:83]
	ds_store_b128 v255, v[84:87] offset:2912
	ds_store_b128 v255, v[88:91] offset:11648
	ds_store_b128 v255, v[92:95] offset:14560
	global_wb scope:SCOPE_SE
	s_wait_dscnt 0x0
	s_barrier_signal -1
	s_barrier_wait -1
	global_inv scope:SCOPE_SE
	s_clause 0x3
	global_load_b128 v[80:83], v255, s[2:3] offset:11440
	global_load_b128 v[84:87], v255, s[2:3] offset:14352
	global_load_b128 v[88:91], v255, s[2:3] offset:17264
	global_load_b128 v[92:95], v255, s[2:3] offset:20176
	ds_load_b128 v[120:123], v255 offset:11648
	ds_load_b128 v[124:127], v255 offset:14560
	;; [unrolled: 1-line block ×4, first 2 shown]
	s_wait_loadcnt_dscnt 0x303
	v_mul_f64_e32 v[136:137], v[122:123], v[82:83]
	v_mul_f64_e32 v[138:139], v[120:121], v[82:83]
	s_wait_loadcnt_dscnt 0x202
	v_mul_f64_e32 v[140:141], v[126:127], v[86:87]
	v_mul_f64_e32 v[142:143], v[124:125], v[86:87]
	;; [unrolled: 3-line block ×4, first 2 shown]
	v_fma_f64 v[136:137], v[120:121], v[80:81], -v[136:137]
	v_fma_f64 v[138:139], v[122:123], v[80:81], v[138:139]
	v_fma_f64 v[156:157], v[124:125], v[84:85], -v[140:141]
	v_fma_f64 v[158:159], v[126:127], v[84:85], v[142:143]
	;; [unrolled: 2-line block ×4, first 2 shown]
	ds_load_b128 v[120:123], v255
	ds_load_b128 v[140:143], v255 offset:2912
	ds_load_b128 v[144:147], v255 offset:5824
	;; [unrolled: 1-line block ×3, first 2 shown]
	s_wait_dscnt 0x3
	v_add_f64_e64 v[124:125], v[120:121], -v[136:137]
	v_add_f64_e64 v[126:127], v[122:123], -v[138:139]
	s_wait_dscnt 0x2
	v_add_f64_e64 v[132:133], v[140:141], -v[156:157]
	v_add_f64_e64 v[134:135], v[142:143], -v[158:159]
	;; [unrolled: 3-line block ×4, first 2 shown]
	v_fma_f64 v[120:121], v[120:121], 2.0, -v[124:125]
	v_fma_f64 v[122:123], v[122:123], 2.0, -v[126:127]
	;; [unrolled: 1-line block ×8, first 2 shown]
	ds_store_b128 v255, v[124:127] offset:11648
	ds_store_b128 v255, v[132:135] offset:14560
	;; [unrolled: 1-line block ×4, first 2 shown]
	ds_store_b128 v255, v[120:123]
	ds_store_b128 v255, v[140:143] offset:2912
	ds_store_b128 v255, v[148:151] offset:5824
	;; [unrolled: 1-line block ×3, first 2 shown]
	global_wb scope:SCOPE_SE
	s_wait_dscnt 0x0
	s_barrier_signal -1
	s_barrier_wait -1
	global_inv scope:SCOPE_SE
	s_and_saveexec_b32 s1, vcc_lo
	s_cbranch_execz .LBB0_13
; %bb.12:
	global_load_b128 v[152:155], v255, s[12:13] offset:23296
	s_add_nc_u64 s[2:3], s[12:13], 0x5b00
	s_clause 0x3
	global_load_b128 v[156:159], v255, s[2:3] offset:1792
	global_load_b128 v[160:163], v255, s[2:3] offset:3584
	global_load_b128 v[164:167], v255, s[2:3] offset:5376
	global_load_b128 v[168:171], v255, s[2:3] offset:7168
	ds_load_b128 v[173:176], v255
	ds_load_b128 v[177:180], v255 offset:1792
	ds_load_b128 v[181:184], v255 offset:21504
	s_wait_loadcnt_dscnt 0x301
	v_mul_f64_e32 v[189:190], v[179:180], v[158:159]
	v_mul_f64_e32 v[185:186], v[175:176], v[154:155]
	;; [unrolled: 1-line block ×4, first 2 shown]
	s_delay_alu instid0(VALU_DEP_4) | instskip(NEXT) | instid1(VALU_DEP_4)
	v_fma_f64 v[177:178], v[177:178], v[156:157], -v[189:190]
	v_fma_f64 v[173:174], v[173:174], v[152:153], -v[185:186]
	s_delay_alu instid0(VALU_DEP_4)
	v_fma_f64 v[175:176], v[175:176], v[152:153], v[154:155]
	ds_load_b128 v[152:155], v255 offset:3584
	ds_load_b128 v[185:188], v255 offset:5376
	v_fma_f64 v[179:180], v[179:180], v[156:157], v[158:159]
	s_wait_loadcnt_dscnt 0x201
	v_mul_f64_e32 v[156:157], v[154:155], v[162:163]
	v_mul_f64_e32 v[158:159], v[152:153], v[162:163]
	s_wait_loadcnt_dscnt 0x100
	v_mul_f64_e32 v[189:190], v[187:188], v[166:167]
	v_mul_f64_e32 v[166:167], v[185:186], v[166:167]
	s_delay_alu instid0(VALU_DEP_4) | instskip(NEXT) | instid1(VALU_DEP_4)
	v_fma_f64 v[152:153], v[152:153], v[160:161], -v[156:157]
	v_fma_f64 v[154:155], v[154:155], v[160:161], v[158:159]
	ds_load_b128 v[160:163], v255 offset:7168
	global_load_b128 v[156:159], v255, s[2:3] offset:8960
	v_fma_f64 v[185:186], v[185:186], v[164:165], -v[189:190]
	v_fma_f64 v[187:188], v[187:188], v[164:165], v[166:167]
	ds_load_b128 v[164:167], v255 offset:8960
	s_wait_loadcnt_dscnt 0x101
	v_mul_f64_e32 v[189:190], v[162:163], v[170:171]
	v_mul_f64_e32 v[170:171], v[160:161], v[170:171]
	s_delay_alu instid0(VALU_DEP_2) | instskip(NEXT) | instid1(VALU_DEP_2)
	v_fma_f64 v[160:161], v[160:161], v[168:169], -v[189:190]
	v_fma_f64 v[162:163], v[162:163], v[168:169], v[170:171]
	global_load_b128 v[168:171], v255, s[2:3] offset:10752
	s_wait_loadcnt_dscnt 0x100
	v_mul_f64_e32 v[189:190], v[166:167], v[158:159]
	v_mul_f64_e32 v[158:159], v[164:165], v[158:159]
	s_delay_alu instid0(VALU_DEP_2) | instskip(NEXT) | instid1(VALU_DEP_2)
	v_fma_f64 v[164:165], v[164:165], v[156:157], -v[189:190]
	v_fma_f64 v[166:167], v[166:167], v[156:157], v[158:159]
	ds_load_b128 v[156:159], v255 offset:10752
	ds_load_b128 v[189:192], v255 offset:12544
	s_wait_loadcnt_dscnt 0x1
	v_mul_f64_e32 v[193:194], v[158:159], v[170:171]
	v_mul_f64_e32 v[170:171], v[156:157], v[170:171]
	s_delay_alu instid0(VALU_DEP_2) | instskip(NEXT) | instid1(VALU_DEP_2)
	v_fma_f64 v[156:157], v[156:157], v[168:169], -v[193:194]
	v_fma_f64 v[158:159], v[158:159], v[168:169], v[170:171]
	s_clause 0x1
	global_load_b128 v[168:171], v255, s[2:3] offset:12544
	global_load_b128 v[193:196], v255, s[2:3] offset:14336
	s_wait_loadcnt_dscnt 0x100
	v_mul_f64_e32 v[197:198], v[191:192], v[170:171]
	v_mul_f64_e32 v[170:171], v[189:190], v[170:171]
	s_delay_alu instid0(VALU_DEP_2) | instskip(NEXT) | instid1(VALU_DEP_2)
	v_fma_f64 v[189:190], v[189:190], v[168:169], -v[197:198]
	v_fma_f64 v[191:192], v[191:192], v[168:169], v[170:171]
	ds_load_b128 v[168:171], v255 offset:14336
	ds_load_b128 v[197:200], v255 offset:16128
	s_wait_loadcnt_dscnt 0x1
	v_mul_f64_e32 v[201:202], v[170:171], v[195:196]
	v_mul_f64_e32 v[195:196], v[168:169], v[195:196]
	s_delay_alu instid0(VALU_DEP_2) | instskip(NEXT) | instid1(VALU_DEP_2)
	v_fma_f64 v[168:169], v[168:169], v[193:194], -v[201:202]
	v_fma_f64 v[170:171], v[170:171], v[193:194], v[195:196]
	s_clause 0x1
	global_load_b128 v[193:196], v255, s[2:3] offset:16128
	;; [unrolled: 17-line block ×3, first 2 shown]
	global_load_b128 v[213:216], v255, s[2:3] offset:21504
	s_wait_loadcnt_dscnt 0x100
	v_mul_f64_e32 v[193:194], v[211:212], v[205:206]
	v_mul_f64_e32 v[207:208], v[209:210], v[205:206]
	s_delay_alu instid0(VALU_DEP_2) | instskip(NEXT) | instid1(VALU_DEP_2)
	v_fma_f64 v[205:206], v[209:210], v[203:204], -v[193:194]
	v_fma_f64 v[207:208], v[211:212], v[203:204], v[207:208]
	s_wait_loadcnt 0x0
	v_mul_f64_e32 v[193:194], v[183:184], v[215:216]
	v_mul_f64_e32 v[203:204], v[181:182], v[215:216]
	s_delay_alu instid0(VALU_DEP_2) | instskip(NEXT) | instid1(VALU_DEP_2)
	v_fma_f64 v[181:182], v[181:182], v[213:214], -v[193:194]
	v_fma_f64 v[183:184], v[183:184], v[213:214], v[203:204]
	ds_store_b128 v255, v[173:176]
	ds_store_b128 v255, v[177:180] offset:1792
	ds_store_b128 v255, v[152:155] offset:3584
	ds_store_b128 v255, v[185:188] offset:5376
	ds_store_b128 v255, v[160:163] offset:7168
	ds_store_b128 v255, v[164:167] offset:8960
	ds_store_b128 v255, v[156:159] offset:10752
	ds_store_b128 v255, v[189:192] offset:12544
	ds_store_b128 v255, v[168:171] offset:14336
	ds_store_b128 v255, v[195:198] offset:16128
	ds_store_b128 v255, v[199:202] offset:17920
	ds_store_b128 v255, v[205:208] offset:19712
	ds_store_b128 v255, v[181:184] offset:21504
.LBB0_13:
	s_wait_alu 0xfffe
	s_or_b32 exec_lo, exec_lo, s1
	global_wb scope:SCOPE_SE
	s_wait_dscnt 0x0
	s_barrier_signal -1
	s_barrier_wait -1
	global_inv scope:SCOPE_SE
	s_and_saveexec_b32 s1, vcc_lo
	s_cbranch_execz .LBB0_15
; %bb.14:
	ds_load_b128 v[120:123], v255
	ds_load_b128 v[124:127], v255 offset:1792
	ds_load_b128 v[140:143], v255 offset:3584
	;; [unrolled: 1-line block ×12, first 2 shown]
.LBB0_15:
	s_wait_alu 0xfffe
	s_or_b32 exec_lo, exec_lo, s1
	s_wait_dscnt 0x0
	v_add_f64_e64 v[181:182], v[126:127], -v[102:103]
	s_mov_b32 s16, 0x4267c47c
	s_mov_b32 s17, 0xbfddbe06
	v_add_f64_e32 v[177:178], v[100:101], v[124:125]
	v_add_f64_e64 v[199:200], v[142:143], -v[106:107]
	v_add_f64_e32 v[209:210], v[106:107], v[142:143]
	s_mov_b32 s2, 0xe00740e9
	s_mov_b32 s10, 0x42a4c3d2
	;; [unrolled: 1-line block ×6, first 2 shown]
	v_add_f64_e32 v[173:174], v[104:105], v[140:141]
	v_add_f64_e32 v[229:230], v[102:103], v[126:127]
	v_add_f64_e64 v[225:226], v[124:125], -v[100:101]
	v_add_f64_e64 v[183:184], v[140:141], -v[104:105]
	;; [unrolled: 1-line block ×3, first 2 shown]
	s_mov_b32 s20, 0x66966769
	s_mov_b32 s21, 0xbfefc445
	v_add_f64_e32 v[187:188], v[132:133], v[108:109]
	s_mov_b32 s18, 0xebaa3ed8
	s_mov_b32 s24, 0x2ef20147
	;; [unrolled: 1-line block ×4, first 2 shown]
	v_add_f64_e32 v[231:232], v[134:135], v[110:111]
	v_add_f64_e64 v[191:192], v[132:133], -v[108:109]
	s_mov_b32 s22, 0xb2365da1
	s_mov_b32 s23, 0xbfd6b1d8
	v_add_f64_e64 v[233:234], v[150:151], -v[114:115]
	v_add_f64_e32 v[195:196], v[148:149], v[112:113]
	s_mov_b32 s34, 0x4bc48dbf
	s_mov_b32 s35, 0xbfcea1e5
	v_add_f64_e32 v[235:236], v[150:151], v[114:115]
	v_add_f64_e64 v[205:206], v[148:149], -v[112:113]
	s_mov_b32 s28, 0x24c2f84
	s_mov_b32 s29, 0xbfe5384d
	s_wait_alu 0xfffe
	s_mov_b32 s40, s28
	v_add_f64_e64 v[237:238], v[138:139], -v[118:119]
	v_mul_f64_e32 v[152:153], s[16:17], v[181:182]
	v_add_f64_e32 v[201:202], v[116:117], v[136:137]
	s_mov_b32 s30, 0x93053d00
	s_mov_b32 s31, 0xbfef11f4
	v_mul_f64_e32 v[154:155], s[10:11], v[199:200]
	v_mul_f64_e32 v[156:157], s[14:15], v[209:210]
	;; [unrolled: 1-line block ×5, first 2 shown]
	s_wait_alu 0xfffe
	v_mul_f64_e32 v[166:167], s[40:41], v[199:200]
	v_add_f64_e32 v[239:240], v[118:119], v[138:139]
	v_mul_f64_e32 v[164:165], s[30:31], v[209:210]
	v_add_f64_e64 v[215:216], v[136:137], -v[116:117]
	s_mov_b32 s39, 0x3fefc445
	s_mov_b32 s38, s20
	v_add_f64_e64 v[241:242], v[146:147], -v[130:131]
	s_wait_alu 0xfffe
	v_mul_f64_e32 v[170:171], s[38:39], v[199:200]
	v_add_f64_e32 v[211:212], v[128:129], v[144:145]
	v_add_f64_e32 v[175:176], v[130:131], v[146:147]
	v_mul_f64_e32 v[168:169], s[26:27], v[209:210]
	v_add_f64_e64 v[221:222], v[144:145], -v[128:129]
	v_mul_f64_e32 v[249:250], s[10:11], v[181:182]
	v_mul_f64_e32 v[185:186], s[14:15], v[229:230]
	s_mov_b32 s37, 0x3fddbe06
	s_mov_b32 s36, s16
	v_mul_f64_e32 v[189:190], s[20:21], v[181:182]
	v_mul_f64_e32 v[193:194], s[18:19], v[229:230]
	s_mov_b32 s43, 0x3fedeba7
	s_mov_b32 s42, s24
	;; [unrolled: 4-line block ×3, first 2 shown]
	s_mov_b32 s46, s10
	v_mul_f64_e32 v[207:208], s[28:29], v[181:182]
	v_mul_f64_e32 v[213:214], s[26:27], v[229:230]
	;; [unrolled: 1-line block ×4, first 2 shown]
	scratch_store_b64 off, v[152:153], off offset:48 ; 8-byte Folded Spill
	v_fma_f64 v[152:153], v[177:178], s[2:3], -v[152:153]
	s_wait_alu 0xfffe
	v_mul_f64_e32 v[227:228], s[44:45], v[233:234]
	v_mul_f64_e32 v[251:252], s[30:31], v[235:236]
	s_clause 0x1
	scratch_store_b64 off, v[154:155], off offset:40
	scratch_store_b64 off, v[156:157], off offset:56
	v_fma_f64 v[154:155], v[173:174], s[14:15], -v[154:155]
	v_fma_f64 v[156:157], v[183:184], s[10:11], v[156:157]
	v_mul_f64_e32 v[243:244], s[36:37], v[237:238]
	scratch_store_b64 off, v[158:159], off offset:136 ; 8-byte Folded Spill
	v_fma_f64 v[158:159], v[173:174], s[22:23], -v[158:159]
	v_mul_f64_e32 v[253:254], s[2:3], v[239:240]
	scratch_store_b64 off, v[160:161], off offset:152 ; 8-byte Folded Spill
	v_fma_f64 v[160:161], v[183:184], s[24:25], v[160:161]
	scratch_store_b64 off, v[164:165], off offset:232 ; 8-byte Folded Spill
	v_fma_f64 v[164:165], v[183:184], s[34:35], v[164:165]
	scratch_store_b64 off, v[162:163], off offset:200 ; 8-byte Folded Spill
	v_fma_f64 v[162:163], v[173:174], s[30:31], -v[162:163]
	v_mul_f64_e32 v[223:224], s[14:15], v[175:176]
	scratch_store_b64 off, v[168:169], off offset:320 ; 8-byte Folded Spill
	v_fma_f64 v[168:169], v[183:184], s[40:41], v[168:169]
	scratch_store_b64 off, v[166:167], off offset:288 ; 8-byte Folded Spill
	v_fma_f64 v[166:167], v[173:174], s[26:27], -v[166:167]
	scratch_store_b64 off, v[170:171], off offset:344 ; 8-byte Folded Spill
	v_fma_f64 v[170:171], v[173:174], s[18:19], -v[170:171]
	v_fma_f64 v[179:180], v[183:184], s[38:39], v[245:246]
	v_add_f64_e32 v[152:153], v[120:121], v[152:153]
	s_delay_alu instid0(VALU_DEP_1) | instskip(SKIP_3) | instid1(VALU_DEP_1)
	v_add_f64_e32 v[152:153], v[154:155], v[152:153]
	v_mul_f64_e32 v[154:155], s[2:3], v[229:230]
	scratch_store_b64 off, v[154:155], off offset:128 ; 8-byte Folded Spill
	v_fma_f64 v[154:155], v[225:226], s[16:17], v[154:155]
	v_add_f64_e32 v[154:155], v[122:123], v[154:155]
	s_delay_alu instid0(VALU_DEP_1) | instskip(SKIP_3) | instid1(VALU_DEP_1)
	v_add_f64_e32 v[154:155], v[156:157], v[154:155]
	v_mul_f64_e32 v[156:157], s[20:21], v[219:220]
	scratch_store_b64 off, v[156:157], off offset:64 ; 8-byte Folded Spill
	v_fma_f64 v[156:157], v[187:188], s[18:19], -v[156:157]
	v_add_f64_e32 v[152:153], v[156:157], v[152:153]
	v_mul_f64_e32 v[156:157], s[18:19], v[231:232]
	scratch_store_b64 off, v[156:157], off offset:72 ; 8-byte Folded Spill
	v_fma_f64 v[156:157], v[191:192], s[20:21], v[156:157]
	s_delay_alu instid0(VALU_DEP_1) | instskip(SKIP_3) | instid1(VALU_DEP_1)
	v_add_f64_e32 v[154:155], v[156:157], v[154:155]
	v_mul_f64_e32 v[156:157], s[24:25], v[233:234]
	scratch_store_b64 off, v[156:157], off offset:80 ; 8-byte Folded Spill
	v_fma_f64 v[156:157], v[195:196], s[22:23], -v[156:157]
	v_add_f64_e32 v[152:153], v[156:157], v[152:153]
	v_mul_f64_e32 v[156:157], s[22:23], v[235:236]
	scratch_store_b64 off, v[156:157], off offset:96 ; 8-byte Folded Spill
	v_fma_f64 v[156:157], v[205:206], s[24:25], v[156:157]
	s_delay_alu instid0(VALU_DEP_1) | instskip(SKIP_3) | instid1(VALU_DEP_1)
	v_add_f64_e32 v[154:155], v[156:157], v[154:155]
	v_mul_f64_e32 v[156:157], s[28:29], v[237:238]
	scratch_store_b64 off, v[156:157], off offset:88 ; 8-byte Folded Spill
	v_fma_f64 v[156:157], v[201:202], s[26:27], -v[156:157]
	v_add_f64_e32 v[152:153], v[156:157], v[152:153]
	v_mul_f64_e32 v[156:157], s[26:27], v[239:240]
	scratch_store_b64 off, v[156:157], off offset:112 ; 8-byte Folded Spill
	v_fma_f64 v[156:157], v[215:216], s[28:29], v[156:157]
	s_delay_alu instid0(VALU_DEP_1) | instskip(SKIP_3) | instid1(VALU_DEP_1)
	v_add_f64_e32 v[154:155], v[156:157], v[154:155]
	v_mul_f64_e32 v[156:157], s[34:35], v[241:242]
	scratch_store_b64 off, v[156:157], off offset:104 ; 8-byte Folded Spill
	v_fma_f64 v[156:157], v[211:212], s[30:31], -v[156:157]
	v_add_f64_e32 v[152:153], v[156:157], v[152:153]
	v_mul_f64_e32 v[156:157], s[30:31], v[175:176]
	scratch_store_b64 off, v[156:157], off offset:120 ; 8-byte Folded Spill
	v_fma_f64 v[156:157], v[221:222], s[34:35], v[156:157]
	s_delay_alu instid0(VALU_DEP_1) | instskip(SKIP_1) | instid1(VALU_DEP_1)
	v_add_f64_e32 v[154:155], v[156:157], v[154:155]
	v_fma_f64 v[156:157], v[177:178], s[14:15], -v[249:250]
	v_add_f64_e32 v[156:157], v[120:121], v[156:157]
	s_delay_alu instid0(VALU_DEP_1) | instskip(SKIP_1) | instid1(VALU_DEP_1)
	v_add_f64_e32 v[156:157], v[158:159], v[156:157]
	v_fma_f64 v[158:159], v[225:226], s[10:11], v[185:186]
	v_add_f64_e32 v[158:159], v[122:123], v[158:159]
	s_delay_alu instid0(VALU_DEP_1) | instskip(SKIP_3) | instid1(VALU_DEP_1)
	v_add_f64_e32 v[158:159], v[160:161], v[158:159]
	v_mul_f64_e32 v[160:161], s[34:35], v[219:220]
	scratch_store_b64 off, v[160:161], off offset:144 ; 8-byte Folded Spill
	v_fma_f64 v[160:161], v[187:188], s[30:31], -v[160:161]
	v_add_f64_e32 v[156:157], v[160:161], v[156:157]
	v_mul_f64_e32 v[160:161], s[30:31], v[231:232]
	scratch_store_b64 off, v[160:161], off offset:168 ; 8-byte Folded Spill
	v_fma_f64 v[160:161], v[191:192], s[34:35], v[160:161]
	s_delay_alu instid0(VALU_DEP_1) | instskip(SKIP_3) | instid1(VALU_DEP_1)
	v_add_f64_e32 v[158:159], v[160:161], v[158:159]
	v_mul_f64_e32 v[160:161], s[40:41], v[233:234]
	scratch_store_b64 off, v[160:161], off offset:160 ; 8-byte Folded Spill
	v_fma_f64 v[160:161], v[195:196], s[26:27], -v[160:161]
	v_add_f64_e32 v[156:157], v[160:161], v[156:157]
	v_mul_f64_e32 v[160:161], s[26:27], v[235:236]
	scratch_store_b64 off, v[160:161], off offset:192 ; 8-byte Folded Spill
	v_fma_f64 v[160:161], v[205:206], s[40:41], v[160:161]
	s_delay_alu instid0(VALU_DEP_1) | instskip(SKIP_3) | instid1(VALU_DEP_1)
	v_add_f64_e32 v[158:159], v[160:161], v[158:159]
	v_mul_f64_e32 v[160:161], s[38:39], v[237:238]
	scratch_store_b64 off, v[160:161], off offset:176 ; 8-byte Folded Spill
	v_fma_f64 v[160:161], v[201:202], s[18:19], -v[160:161]
	v_add_f64_e32 v[156:157], v[160:161], v[156:157]
	v_mul_f64_e32 v[160:161], s[18:19], v[239:240]
	scratch_store_b64 off, v[160:161], off offset:208 ; 8-byte Folded Spill
	v_fma_f64 v[160:161], v[215:216], s[38:39], v[160:161]
	s_delay_alu instid0(VALU_DEP_1) | instskip(SKIP_3) | instid1(VALU_DEP_1)
	v_add_f64_e32 v[158:159], v[160:161], v[158:159]
	v_mul_f64_e32 v[160:161], s[36:37], v[241:242]
	scratch_store_b64 off, v[160:161], off offset:184 ; 8-byte Folded Spill
	v_fma_f64 v[160:161], v[211:212], s[2:3], -v[160:161]
	v_add_f64_e32 v[156:157], v[160:161], v[156:157]
	v_mul_f64_e32 v[160:161], s[2:3], v[175:176]
	scratch_store_b64 off, v[160:161], off offset:216 ; 8-byte Folded Spill
	v_fma_f64 v[160:161], v[221:222], s[36:37], v[160:161]
	s_delay_alu instid0(VALU_DEP_1) | instskip(SKIP_1) | instid1(VALU_DEP_1)
	v_add_f64_e32 v[158:159], v[160:161], v[158:159]
	v_fma_f64 v[160:161], v[177:178], s[18:19], -v[189:190]
	v_add_f64_e32 v[160:161], v[120:121], v[160:161]
	s_delay_alu instid0(VALU_DEP_1) | instskip(SKIP_1) | instid1(VALU_DEP_1)
	v_add_f64_e32 v[160:161], v[162:163], v[160:161]
	v_fma_f64 v[162:163], v[225:226], s[20:21], v[193:194]
	v_add_f64_e32 v[162:163], v[122:123], v[162:163]
	s_delay_alu instid0(VALU_DEP_1) | instskip(SKIP_3) | instid1(VALU_DEP_1)
	v_add_f64_e32 v[162:163], v[164:165], v[162:163]
	v_mul_f64_e32 v[164:165], s[42:43], v[219:220]
	scratch_store_b64 off, v[164:165], off offset:224 ; 8-byte Folded Spill
	v_fma_f64 v[164:165], v[187:188], s[22:23], -v[164:165]
	v_add_f64_e32 v[160:161], v[164:165], v[160:161]
	v_mul_f64_e32 v[164:165], s[22:23], v[231:232]
	scratch_store_b64 off, v[164:165], off offset:248 ; 8-byte Folded Spill
	v_fma_f64 v[164:165], v[191:192], s[42:43], v[164:165]
	s_delay_alu instid0(VALU_DEP_1) | instskip(SKIP_3) | instid1(VALU_DEP_1)
	v_add_f64_e32 v[162:163], v[164:165], v[162:163]
	v_mul_f64_e32 v[164:165], s[36:37], v[233:234]
	scratch_store_b64 off, v[164:165], off offset:240 ; 8-byte Folded Spill
	v_fma_f64 v[164:165], v[195:196], s[2:3], -v[164:165]
	v_add_f64_e32 v[160:161], v[164:165], v[160:161]
	v_mul_f64_e32 v[164:165], s[2:3], v[235:236]
	scratch_store_b64 off, v[164:165], off offset:264 ; 8-byte Folded Spill
	v_fma_f64 v[164:165], v[205:206], s[36:37], v[164:165]
	s_delay_alu instid0(VALU_DEP_1) | instskip(SKIP_3) | instid1(VALU_DEP_1)
	v_add_f64_e32 v[162:163], v[164:165], v[162:163]
	v_mul_f64_e32 v[164:165], s[10:11], v[237:238]
	scratch_store_b64 off, v[164:165], off offset:256 ; 8-byte Folded Spill
	v_fma_f64 v[164:165], v[201:202], s[14:15], -v[164:165]
	v_add_f64_e32 v[160:161], v[164:165], v[160:161]
	v_mul_f64_e32 v[164:165], s[14:15], v[239:240]
	scratch_store_b64 off, v[164:165], off offset:280 ; 8-byte Folded Spill
	v_fma_f64 v[164:165], v[215:216], s[10:11], v[164:165]
	s_delay_alu instid0(VALU_DEP_1) | instskip(SKIP_3) | instid1(VALU_DEP_1)
	v_add_f64_e32 v[162:163], v[164:165], v[162:163]
	v_mul_f64_e32 v[164:165], s[28:29], v[241:242]
	scratch_store_b64 off, v[164:165], off offset:272 ; 8-byte Folded Spill
	v_fma_f64 v[164:165], v[211:212], s[26:27], -v[164:165]
	v_add_f64_e32 v[160:161], v[164:165], v[160:161]
	v_mul_f64_e32 v[164:165], s[26:27], v[175:176]
	scratch_store_b64 off, v[164:165], off offset:304 ; 8-byte Folded Spill
	v_fma_f64 v[164:165], v[221:222], s[28:29], v[164:165]
	s_delay_alu instid0(VALU_DEP_1) | instskip(SKIP_1) | instid1(VALU_DEP_1)
	v_add_f64_e32 v[162:163], v[164:165], v[162:163]
	v_fma_f64 v[164:165], v[177:178], s[22:23], -v[197:198]
	v_add_f64_e32 v[164:165], v[120:121], v[164:165]
	s_delay_alu instid0(VALU_DEP_1) | instskip(SKIP_1) | instid1(VALU_DEP_1)
	v_add_f64_e32 v[164:165], v[166:167], v[164:165]
	v_fma_f64 v[166:167], v[225:226], s[24:25], v[203:204]
	v_add_f64_e32 v[166:167], v[122:123], v[166:167]
	s_delay_alu instid0(VALU_DEP_1) | instskip(SKIP_3) | instid1(VALU_DEP_1)
	v_add_f64_e32 v[166:167], v[168:169], v[166:167]
	v_mul_f64_e32 v[168:169], s[36:37], v[219:220]
	scratch_store_b64 off, v[168:169], off offset:296 ; 8-byte Folded Spill
	v_fma_f64 v[168:169], v[187:188], s[2:3], -v[168:169]
	v_add_f64_e32 v[164:165], v[168:169], v[164:165]
	v_mul_f64_e32 v[168:169], s[2:3], v[231:232]
	scratch_store_b64 off, v[168:169], off offset:352 ; 8-byte Folded Spill
	v_fma_f64 v[168:169], v[191:192], s[36:37], v[168:169]
	s_delay_alu instid0(VALU_DEP_1) | instskip(SKIP_3) | instid1(VALU_DEP_1)
	v_add_f64_e32 v[166:167], v[168:169], v[166:167]
	v_mul_f64_e32 v[168:169], s[20:21], v[233:234]
	scratch_store_b64 off, v[168:169], off offset:312 ; 8-byte Folded Spill
	v_fma_f64 v[168:169], v[195:196], s[18:19], -v[168:169]
	v_add_f64_e32 v[164:165], v[168:169], v[164:165]
	v_mul_f64_e32 v[168:169], s[18:19], v[235:236]
	scratch_store_b64 off, v[168:169], off offset:360 ; 8-byte Folded Spill
	v_fma_f64 v[168:169], v[205:206], s[20:21], v[168:169]
	s_delay_alu instid0(VALU_DEP_1) | instskip(SKIP_3) | instid1(VALU_DEP_1)
	v_add_f64_e32 v[166:167], v[168:169], v[166:167]
	v_mul_f64_e32 v[168:169], s[44:45], v[237:238]
	scratch_store_b64 off, v[168:169], off offset:328 ; 8-byte Folded Spill
	v_fma_f64 v[168:169], v[201:202], s[30:31], -v[168:169]
	v_add_f64_e32 v[164:165], v[168:169], v[164:165]
	v_mul_f64_e32 v[168:169], s[30:31], v[239:240]
	scratch_store_b64 off, v[168:169], off offset:384 ; 8-byte Folded Spill
	v_fma_f64 v[168:169], v[215:216], s[44:45], v[168:169]
	s_delay_alu instid0(VALU_DEP_1) | instskip(SKIP_3) | instid1(VALU_DEP_1)
	v_add_f64_e32 v[166:167], v[168:169], v[166:167]
	v_mul_f64_e32 v[168:169], s[46:47], v[241:242]
	scratch_store_b64 off, v[168:169], off offset:336 ; 8-byte Folded Spill
	v_fma_f64 v[168:169], v[211:212], s[14:15], -v[168:169]
	v_add_f64_e32 v[164:165], v[168:169], v[164:165]
	v_fma_f64 v[168:169], v[221:222], s[46:47], v[223:224]
	s_delay_alu instid0(VALU_DEP_1) | instskip(SKIP_1) | instid1(VALU_DEP_1)
	v_add_f64_e32 v[166:167], v[168:169], v[166:167]
	v_fma_f64 v[168:169], v[177:178], s[26:27], -v[207:208]
	v_add_f64_e32 v[168:169], v[120:121], v[168:169]
	s_delay_alu instid0(VALU_DEP_1) | instskip(SKIP_1) | instid1(VALU_DEP_1)
	v_add_f64_e32 v[168:169], v[170:171], v[168:169]
	v_fma_f64 v[170:171], v[225:226], s[28:29], v[213:214]
	v_add_f64_e32 v[170:171], v[122:123], v[170:171]
	s_delay_alu instid0(VALU_DEP_1) | instskip(SKIP_3) | instid1(VALU_DEP_1)
	v_add_f64_e32 v[170:171], v[179:180], v[170:171]
	v_mul_f64_e32 v[179:180], s[10:11], v[219:220]
	scratch_store_b64 off, v[179:180], off offset:368 ; 8-byte Folded Spill
	v_fma_f64 v[179:180], v[187:188], s[14:15], -v[179:180]
	v_add_f64_e32 v[168:169], v[179:180], v[168:169]
	v_fma_f64 v[179:180], v[191:192], s[10:11], v[247:248]
	s_delay_alu instid0(VALU_DEP_1) | instskip(SKIP_1) | instid1(VALU_DEP_1)
	v_add_f64_e32 v[170:171], v[179:180], v[170:171]
	v_fma_f64 v[179:180], v[195:196], s[30:31], -v[227:228]
	v_add_f64_e32 v[168:169], v[179:180], v[168:169]
	v_fma_f64 v[179:180], v[205:206], s[44:45], v[251:252]
	s_delay_alu instid0(VALU_DEP_1) | instskip(SKIP_1) | instid1(VALU_DEP_1)
	v_add_f64_e32 v[170:171], v[179:180], v[170:171]
	v_fma_f64 v[179:180], v[201:202], s[2:3], -v[243:244]
	v_add_f64_e32 v[168:169], v[179:180], v[168:169]
	v_fma_f64 v[179:180], v[215:216], s[36:37], v[253:254]
	s_delay_alu instid0(VALU_DEP_1)
	v_add_f64_e32 v[170:171], v[179:180], v[170:171]
	v_mul_f64_e32 v[179:180], s[24:25], v[241:242]
	scratch_store_b64 off, v[179:180], off offset:376 ; 8-byte Folded Spill
	v_fma_f64 v[179:180], v[211:212], s[22:23], -v[179:180]
	global_wb scope:SCOPE_SE
	s_wait_storecnt 0x0
	s_barrier_signal -1
	s_barrier_wait -1
	global_inv scope:SCOPE_SE
	v_add_f64_e32 v[168:169], v[179:180], v[168:169]
	v_mul_f64_e32 v[179:180], s[22:23], v[175:176]
	s_delay_alu instid0(VALU_DEP_1) | instskip(NEXT) | instid1(VALU_DEP_1)
	v_fma_f64 v[217:218], v[221:222], s[24:25], v[179:180]
	v_add_f64_e32 v[170:171], v[217:218], v[170:171]
	s_and_saveexec_b32 s1, vcc_lo
	s_cbranch_execz .LBB0_17
; %bb.16:
	v_add_f64_e32 v[126:127], v[122:123], v[126:127]
	v_add_f64_e32 v[124:125], v[120:121], v[124:125]
	s_delay_alu instid0(VALU_DEP_2) | instskip(NEXT) | instid1(VALU_DEP_2)
	v_add_f64_e32 v[126:127], v[142:143], v[126:127]
	v_add_f64_e32 v[124:125], v[140:141], v[124:125]
	s_delay_alu instid0(VALU_DEP_2) | instskip(NEXT) | instid1(VALU_DEP_2)
	v_add_f64_e32 v[126:127], v[134:135], v[126:127]
	v_add_f64_e32 v[124:125], v[132:133], v[124:125]
	v_mul_f64_e32 v[134:135], s[2:3], v[177:178]
	s_delay_alu instid0(VALU_DEP_3) | instskip(NEXT) | instid1(VALU_DEP_3)
	v_add_f64_e32 v[126:127], v[150:151], v[126:127]
	v_add_f64_e32 v[124:125], v[148:149], v[124:125]
	v_mul_f64_e32 v[150:151], s[38:39], v[241:242]
	s_delay_alu instid0(VALU_DEP_3) | instskip(NEXT) | instid1(VALU_DEP_3)
	v_add_f64_e32 v[126:127], v[138:139], v[126:127]
	v_add_f64_e32 v[124:125], v[136:137], v[124:125]
	scratch_load_b64 v[136:137], off, off offset:48 th:TH_LOAD_LU ; 8-byte Folded Reload
	v_add_f64_e32 v[126:127], v[146:147], v[126:127]
	v_add_f64_e32 v[124:125], v[144:145], v[124:125]
	s_delay_alu instid0(VALU_DEP_2)
	v_add_f64_e32 v[126:127], v[130:131], v[126:127]
	scratch_load_b64 v[130:131], off, off offset:128 th:TH_LOAD_LU ; 8-byte Folded Reload
	v_add_f64_e32 v[124:125], v[128:129], v[124:125]
	v_mul_f64_e32 v[128:129], s[16:17], v[225:226]
	v_add_f64_e32 v[118:119], v[118:119], v[126:127]
	v_mul_f64_e32 v[126:127], s[14:15], v[177:178]
	s_delay_alu instid0(VALU_DEP_4) | instskip(SKIP_1) | instid1(VALU_DEP_4)
	v_add_f64_e32 v[116:117], v[116:117], v[124:125]
	v_mul_f64_e32 v[124:125], s[10:11], v[225:226]
	v_add_f64_e32 v[114:115], v[114:115], v[118:119]
	v_mul_f64_e32 v[118:119], s[18:19], v[177:178]
	s_delay_alu instid0(VALU_DEP_4)
	v_add_f64_e32 v[112:113], v[112:113], v[116:117]
	v_mul_f64_e32 v[116:117], s[20:21], v[225:226]
	v_add_f64_e32 v[126:127], v[126:127], v[249:250]
	v_add_f64_e64 v[124:125], v[185:186], -v[124:125]
	v_add_f64_e32 v[110:111], v[110:111], v[114:115]
	v_mul_f64_e32 v[114:115], s[22:23], v[177:178]
	v_add_f64_e32 v[108:109], v[108:109], v[112:113]
	v_mul_f64_e32 v[112:113], s[24:25], v[225:226]
	v_add_f64_e32 v[118:119], v[118:119], v[189:190]
	v_add_f64_e64 v[116:117], v[193:194], -v[116:117]
	v_add_f64_e32 v[106:107], v[106:107], v[110:111]
	v_mul_f64_e32 v[110:111], s[26:27], v[177:178]
	v_add_f64_e32 v[104:105], v[104:105], v[108:109]
	v_mul_f64_e32 v[108:109], s[28:29], v[225:226]
	v_add_f64_e32 v[114:115], v[114:115], v[197:198]
	v_add_f64_e64 v[112:113], v[203:204], -v[112:113]
	v_add_f64_e32 v[118:119], v[120:121], v[118:119]
	v_add_f64_e32 v[116:117], v[122:123], v[116:117]
	;; [unrolled: 1-line block ×5, first 2 shown]
	v_mul_f64_e32 v[104:105], s[34:35], v[225:226]
	v_add_f64_e64 v[108:109], v[213:214], -v[108:109]
	v_add_f64_e32 v[144:145], v[120:121], v[114:115]
	v_add_f64_e32 v[114:115], v[120:121], v[126:127]
	;; [unrolled: 1-line block ×5, first 2 shown]
	v_mul_f64_e32 v[110:111], s[36:37], v[199:200]
	v_fma_f64 v[106:107], v[229:230], s[30:31], v[104:105]
	v_fma_f64 v[104:105], v[229:230], s[30:31], -v[104:105]
	v_add_f64_e32 v[138:139], v[122:123], v[108:109]
	v_mul_f64_e32 v[108:109], s[36:37], v[183:184]
	s_wait_loadcnt 0x1
	v_add_f64_e32 v[134:135], v[134:135], v[136:137]
	v_add_f64_e32 v[106:107], v[122:123], v[106:107]
	;; [unrolled: 1-line block ×3, first 2 shown]
	s_delay_alu instid0(VALU_DEP_4) | instskip(SKIP_2) | instid1(VALU_DEP_3)
	v_fma_f64 v[104:105], v[209:210], s[2:3], v[108:109]
	v_fma_f64 v[108:109], v[209:210], s[2:3], -v[108:109]
	v_add_f64_e32 v[134:135], v[120:121], v[134:135]
	v_add_f64_e32 v[104:105], v[104:105], v[106:107]
	v_fma_f64 v[106:107], v[173:174], s[2:3], -v[110:111]
	s_delay_alu instid0(VALU_DEP_4)
	v_add_f64_e32 v[108:109], v[108:109], v[136:137]
	v_fma_f64 v[110:111], v[173:174], s[2:3], v[110:111]
	scratch_load_b64 v[136:137], off, off offset:160 th:TH_LOAD_LU ; 8-byte Folded Reload
	s_wait_loadcnt 0x1
	v_add_f64_e64 v[128:129], v[130:131], -v[128:129]
	v_mul_f64_e32 v[130:131], s[34:35], v[181:182]
	s_delay_alu instid0(VALU_DEP_2) | instskip(NEXT) | instid1(VALU_DEP_2)
	v_add_f64_e32 v[128:129], v[122:123], v[128:129]
	v_fma_f64 v[132:133], v[177:178], s[30:31], -v[130:131]
	v_fma_f64 v[130:131], v[177:178], s[30:31], v[130:131]
	v_mul_f64_e32 v[177:178], s[38:39], v[221:222]
	s_delay_alu instid0(VALU_DEP_3) | instskip(NEXT) | instid1(VALU_DEP_3)
	v_add_f64_e32 v[132:133], v[120:121], v[132:133]
	v_add_f64_e32 v[130:131], v[120:121], v[130:131]
	v_mul_f64_e32 v[120:121], s[28:29], v[191:192]
	s_delay_alu instid0(VALU_DEP_3) | instskip(NEXT) | instid1(VALU_DEP_3)
	v_add_f64_e32 v[106:107], v[106:107], v[132:133]
	v_add_f64_e32 v[110:111], v[110:111], v[130:131]
	s_delay_alu instid0(VALU_DEP_3)
	v_fma_f64 v[122:123], v[231:232], s[26:27], v[120:121]
	v_fma_f64 v[120:121], v[231:232], s[26:27], -v[120:121]
	scratch_load_b64 v[130:131], off, off offset:144 th:TH_LOAD_LU ; 8-byte Folded Reload
	v_add_f64_e32 v[104:105], v[122:123], v[104:105]
	v_mul_f64_e32 v[122:123], s[28:29], v[219:220]
	v_add_f64_e32 v[108:109], v[120:121], v[108:109]
	s_delay_alu instid0(VALU_DEP_2) | instskip(SKIP_2) | instid1(VALU_DEP_3)
	v_fma_f64 v[124:125], v[187:188], s[26:27], -v[122:123]
	v_fma_f64 v[120:121], v[187:188], s[26:27], v[122:123]
	v_fma_f64 v[122:123], v[211:212], s[18:19], v[150:151]
	v_add_f64_e32 v[106:107], v[124:125], v[106:107]
	v_mul_f64_e32 v[124:125], s[46:47], v[205:206]
	s_delay_alu instid0(VALU_DEP_4) | instskip(NEXT) | instid1(VALU_DEP_2)
	v_add_f64_e32 v[110:111], v[120:121], v[110:111]
	v_fma_f64 v[126:127], v[235:236], s[14:15], v[124:125]
	v_fma_f64 v[124:125], v[235:236], s[14:15], -v[124:125]
	s_delay_alu instid0(VALU_DEP_2) | instskip(SKIP_1) | instid1(VALU_DEP_3)
	v_add_f64_e32 v[104:105], v[126:127], v[104:105]
	v_mul_f64_e32 v[126:127], s[46:47], v[233:234]
	v_add_f64_e32 v[108:109], v[124:125], v[108:109]
	scratch_load_b64 v[124:125], off, off offset:136 th:TH_LOAD_LU ; 8-byte Folded Reload
	v_fma_f64 v[132:133], v[195:196], s[14:15], -v[126:127]
	v_fma_f64 v[120:121], v[195:196], s[14:15], v[126:127]
	scratch_load_b64 v[126:127], off, off offset:168 th:TH_LOAD_LU ; 8-byte Folded Reload
	v_add_f64_e32 v[106:107], v[132:133], v[106:107]
	v_mul_f64_e32 v[132:133], s[24:25], v[215:216]
	v_add_f64_e32 v[110:111], v[120:121], v[110:111]
	s_delay_alu instid0(VALU_DEP_2) | instskip(SKIP_1) | instid1(VALU_DEP_2)
	v_fma_f64 v[146:147], v[239:240], s[22:23], v[132:133]
	v_fma_f64 v[132:133], v[239:240], s[22:23], -v[132:133]
	v_add_f64_e32 v[104:105], v[146:147], v[104:105]
	v_mul_f64_e32 v[146:147], s[24:25], v[237:238]
	s_delay_alu instid0(VALU_DEP_3)
	v_add_f64_e32 v[108:109], v[132:133], v[108:109]
	scratch_load_b64 v[132:133], off, off offset:192 th:TH_LOAD_LU ; 8-byte Folded Reload
	v_fma_f64 v[148:149], v[201:202], s[22:23], -v[146:147]
	v_fma_f64 v[120:121], v[201:202], s[22:23], v[146:147]
	scratch_load_b64 v[146:147], off, off offset:208 th:TH_LOAD_LU ; 8-byte Folded Reload
	v_add_f64_e32 v[148:149], v[148:149], v[106:107]
	v_fma_f64 v[106:107], v[175:176], s[18:19], v[177:178]
	v_add_f64_e32 v[120:121], v[120:121], v[110:111]
	s_delay_alu instid0(VALU_DEP_2) | instskip(SKIP_1) | instid1(VALU_DEP_1)
	v_add_f64_e32 v[106:107], v[106:107], v[104:105]
	v_fma_f64 v[104:105], v[211:212], s[18:19], -v[150:151]
	v_add_f64_e32 v[104:105], v[104:105], v[148:149]
	v_fma_f64 v[148:149], v[175:176], s[18:19], -v[177:178]
	s_delay_alu instid0(VALU_DEP_1) | instskip(SKIP_4) | instid1(VALU_DEP_1)
	v_add_f64_e32 v[110:111], v[148:149], v[108:109]
	v_add_f64_e32 v[108:109], v[122:123], v[120:121]
	scratch_load_b64 v[122:123], off, off offset:152 th:TH_LOAD_LU ; 8-byte Folded Reload
	v_mul_f64_e32 v[120:121], s[24:25], v[183:184]
	s_wait_loadcnt 0x0
	v_add_f64_e64 v[120:121], v[122:123], -v[120:121]
	v_mul_f64_e32 v[122:123], s[22:23], v[173:174]
	s_delay_alu instid0(VALU_DEP_2) | instskip(NEXT) | instid1(VALU_DEP_2)
	v_add_f64_e32 v[112:113], v[120:121], v[112:113]
	v_add_f64_e32 v[122:123], v[122:123], v[124:125]
	v_mul_f64_e32 v[124:125], s[34:35], v[191:192]
	v_mul_f64_e32 v[120:121], s[18:19], v[201:202]
	s_delay_alu instid0(VALU_DEP_3) | instskip(SKIP_3) | instid1(VALU_DEP_2)
	v_add_f64_e32 v[114:115], v[122:123], v[114:115]
	scratch_load_b64 v[122:123], off, off offset:176 th:TH_LOAD_LU ; 8-byte Folded Reload
	v_add_f64_e64 v[124:125], v[126:127], -v[124:125]
	v_mul_f64_e32 v[126:127], s[30:31], v[187:188]
	v_add_f64_e32 v[112:113], v[124:125], v[112:113]
	s_delay_alu instid0(VALU_DEP_2)
	v_add_f64_e32 v[126:127], v[126:127], v[130:131]
	v_mul_f64_e32 v[130:131], s[40:41], v[205:206]
	scratch_load_b64 v[124:125], off, off offset:216 th:TH_LOAD_LU ; 8-byte Folded Reload
	v_add_f64_e32 v[114:115], v[126:127], v[114:115]
	v_add_f64_e64 v[130:131], v[132:133], -v[130:131]
	v_mul_f64_e32 v[132:133], s[26:27], v[195:196]
	s_delay_alu instid0(VALU_DEP_2) | instskip(NEXT) | instid1(VALU_DEP_2)
	v_add_f64_e32 v[112:113], v[130:131], v[112:113]
	v_add_f64_e32 v[132:133], v[132:133], v[136:137]
	v_mul_f64_e32 v[136:137], s[38:39], v[215:216]
	s_delay_alu instid0(VALU_DEP_2)
	v_add_f64_e32 v[114:115], v[132:133], v[114:115]
	s_clause 0x1
	scratch_load_b64 v[132:133], off, off offset:264 th:TH_LOAD_LU
	scratch_load_b64 v[126:127], off, off offset:184 th:TH_LOAD_LU
	v_add_f64_e64 v[136:137], v[146:147], -v[136:137]
	scratch_load_b64 v[146:147], off, off offset:280 th:TH_LOAD_LU ; 8-byte Folded Reload
	v_add_f64_e32 v[112:113], v[136:137], v[112:113]
	s_clause 0x1
	scratch_load_b64 v[136:137], off, off offset:240 th:TH_LOAD_LU
	scratch_load_b64 v[130:131], off, off offset:224 th:TH_LOAD_LU
	s_wait_loadcnt 0x6
	v_add_f64_e32 v[120:121], v[120:121], v[122:123]
	v_mul_f64_e32 v[122:123], s[36:37], v[221:222]
	s_delay_alu instid0(VALU_DEP_2) | instskip(SKIP_1) | instid1(VALU_DEP_2)
	v_add_f64_e32 v[120:121], v[120:121], v[114:115]
	s_wait_loadcnt 0x5
	v_add_f64_e64 v[122:123], v[124:125], -v[122:123]
	v_mul_f64_e32 v[124:125], s[2:3], v[211:212]
	s_delay_alu instid0(VALU_DEP_2)
	v_add_f64_e32 v[114:115], v[122:123], v[112:113]
	scratch_load_b64 v[122:123], off, off offset:232 th:TH_LOAD_LU ; 8-byte Folded Reload
	s_wait_loadcnt 0x4
	v_add_f64_e32 v[124:125], v[124:125], v[126:127]
	scratch_load_b64 v[126:127], off, off offset:248 th:TH_LOAD_LU ; 8-byte Folded Reload
	v_add_f64_e32 v[112:113], v[124:125], v[120:121]
	scratch_load_b64 v[124:125], off, off offset:200 th:TH_LOAD_LU ; 8-byte Folded Reload
	v_mul_f64_e32 v[120:121], s[34:35], v[183:184]
	s_wait_loadcnt 0x2
	s_delay_alu instid0(VALU_DEP_1) | instskip(SKIP_1) | instid1(VALU_DEP_2)
	v_add_f64_e64 v[120:121], v[122:123], -v[120:121]
	v_mul_f64_e32 v[122:123], s[30:31], v[173:174]
	v_add_f64_e32 v[116:117], v[120:121], v[116:117]
	v_mul_f64_e32 v[120:121], s[14:15], v[201:202]
	s_wait_loadcnt 0x0
	s_delay_alu instid0(VALU_DEP_3) | instskip(SKIP_1) | instid1(VALU_DEP_2)
	v_add_f64_e32 v[122:123], v[122:123], v[124:125]
	v_mul_f64_e32 v[124:125], s[42:43], v[191:192]
	v_add_f64_e32 v[118:119], v[122:123], v[118:119]
	scratch_load_b64 v[122:123], off, off offset:256 th:TH_LOAD_LU ; 8-byte Folded Reload
	v_add_f64_e64 v[124:125], v[126:127], -v[124:125]
	v_mul_f64_e32 v[126:127], s[22:23], v[187:188]
	s_delay_alu instid0(VALU_DEP_2) | instskip(NEXT) | instid1(VALU_DEP_2)
	v_add_f64_e32 v[116:117], v[124:125], v[116:117]
	v_add_f64_e32 v[126:127], v[126:127], v[130:131]
	scratch_load_b64 v[124:125], off, off offset:304 th:TH_LOAD_LU ; 8-byte Folded Reload
	v_mul_f64_e32 v[130:131], s[36:37], v[205:206]
	v_add_f64_e32 v[118:119], v[126:127], v[118:119]
	scratch_load_b64 v[126:127], off, off offset:272 th:TH_LOAD_LU ; 8-byte Folded Reload
	v_add_f64_e64 v[130:131], v[132:133], -v[130:131]
	v_mul_f64_e32 v[132:133], s[2:3], v[195:196]
	s_delay_alu instid0(VALU_DEP_2) | instskip(NEXT) | instid1(VALU_DEP_2)
	v_add_f64_e32 v[116:117], v[130:131], v[116:117]
	v_add_f64_e32 v[132:133], v[132:133], v[136:137]
	v_mul_f64_e32 v[136:137], s[10:11], v[215:216]
	s_delay_alu instid0(VALU_DEP_2) | instskip(NEXT) | instid1(VALU_DEP_2)
	v_add_f64_e32 v[118:119], v[132:133], v[118:119]
	v_add_f64_e64 v[136:137], v[146:147], -v[136:137]
	s_clause 0x2
	scratch_load_b64 v[132:133], off, off offset:360 th:TH_LOAD_LU
	scratch_load_b64 v[130:131], off, off offset:296 th:TH_LOAD_LU
	;; [unrolled: 1-line block ×3, first 2 shown]
	v_add_f64_e32 v[116:117], v[136:137], v[116:117]
	s_wait_loadcnt 0x5
	v_add_f64_e32 v[120:121], v[120:121], v[122:123]
	v_mul_f64_e32 v[122:123], s[28:29], v[221:222]
	s_delay_alu instid0(VALU_DEP_2) | instskip(SKIP_1) | instid1(VALU_DEP_2)
	v_add_f64_e32 v[120:121], v[120:121], v[118:119]
	s_wait_loadcnt 0x4
	v_add_f64_e64 v[122:123], v[124:125], -v[122:123]
	v_mul_f64_e32 v[124:125], s[26:27], v[211:212]
	s_delay_alu instid0(VALU_DEP_2) | instskip(SKIP_1) | instid1(VALU_DEP_2)
	v_add_f64_e32 v[118:119], v[122:123], v[116:117]
	s_wait_loadcnt 0x3
	v_add_f64_e32 v[124:125], v[124:125], v[126:127]
	s_clause 0x2
	scratch_load_b64 v[122:123], off, off offset:320 th:TH_LOAD_LU
	scratch_load_b64 v[126:127], off, off offset:352 th:TH_LOAD_LU
	;; [unrolled: 1-line block ×3, first 2 shown]
	v_add_f64_e32 v[116:117], v[124:125], v[120:121]
	scratch_load_b64 v[124:125], off, off offset:288 th:TH_LOAD_LU ; 8-byte Folded Reload
	v_mul_f64_e32 v[120:121], s[40:41], v[183:184]
	s_wait_loadcnt 0x3
	s_delay_alu instid0(VALU_DEP_1) | instskip(SKIP_1) | instid1(VALU_DEP_2)
	v_add_f64_e64 v[120:121], v[122:123], -v[120:121]
	v_mul_f64_e32 v[122:123], s[26:27], v[173:174]
	v_add_f64_e32 v[120:121], v[120:121], v[142:143]
	s_wait_loadcnt 0x0
	s_delay_alu instid0(VALU_DEP_2) | instskip(SKIP_2) | instid1(VALU_DEP_3)
	v_add_f64_e32 v[122:123], v[122:123], v[124:125]
	v_mul_f64_e32 v[124:125], s[36:37], v[191:192]
	v_mul_f64_e32 v[142:143], s[30:31], v[201:202]
	v_add_f64_e32 v[122:123], v[122:123], v[144:145]
	s_delay_alu instid0(VALU_DEP_3)
	v_add_f64_e64 v[124:125], v[126:127], -v[124:125]
	v_mul_f64_e32 v[126:127], s[2:3], v[187:188]
	scratch_load_b64 v[144:145], off, off offset:328 th:TH_LOAD_LU ; 8-byte Folded Reload
	v_add_f64_e32 v[120:121], v[124:125], v[120:121]
	v_add_f64_e32 v[126:127], v[126:127], v[130:131]
	v_mul_f64_e32 v[130:131], s[20:21], v[205:206]
	v_mul_f64_e32 v[124:125], s[46:47], v[221:222]
	s_delay_alu instid0(VALU_DEP_3) | instskip(NEXT) | instid1(VALU_DEP_3)
	v_add_f64_e32 v[122:123], v[126:127], v[122:123]
	v_add_f64_e64 v[130:131], v[132:133], -v[130:131]
	v_mul_f64_e32 v[132:133], s[18:19], v[195:196]
	v_mul_f64_e32 v[126:127], s[14:15], v[211:212]
	v_add_f64_e64 v[124:125], v[223:224], -v[124:125]
	s_delay_alu instid0(VALU_DEP_4) | instskip(SKIP_3) | instid1(VALU_DEP_2)
	v_add_f64_e32 v[120:121], v[130:131], v[120:121]
	scratch_load_b64 v[130:131], off, off offset:336 th:TH_LOAD_LU ; 8-byte Folded Reload
	v_add_f64_e32 v[132:133], v[132:133], v[136:137]
	v_mul_f64_e32 v[136:137], s[44:45], v[215:216]
	v_add_f64_e32 v[122:123], v[132:133], v[122:123]
	s_delay_alu instid0(VALU_DEP_2)
	v_add_f64_e64 v[136:137], v[146:147], -v[136:137]
	v_mul_f64_e32 v[132:133], s[14:15], v[187:188]
	scratch_load_b64 v[146:147], off, off offset:112 th:TH_LOAD_LU ; 8-byte Folded Reload
	v_add_f64_e32 v[120:121], v[136:137], v[120:121]
	scratch_load_b64 v[136:137], off, off offset:368 th:TH_LOAD_LU ; 8-byte Folded Reload
	s_wait_loadcnt 0x3
	v_add_f64_e32 v[142:143], v[142:143], v[144:145]
	v_mul_f64_e32 v[144:145], s[36:37], v[215:216]
	s_delay_alu instid0(VALU_DEP_1) | instskip(SKIP_2) | instid1(VALU_DEP_4)
	v_add_f64_e64 v[144:145], v[253:254], -v[144:145]
	s_wait_loadcnt 0x2
	v_add_f64_e32 v[126:127], v[126:127], v[130:131]
	v_add_f64_e32 v[130:131], v[142:143], v[122:123]
	;; [unrolled: 1-line block ×3, first 2 shown]
	v_mul_f64_e32 v[124:125], s[38:39], v[183:184]
	v_mul_f64_e32 v[142:143], s[30:31], v[195:196]
	s_delay_alu instid0(VALU_DEP_4)
	v_add_f64_e32 v[120:121], v[126:127], v[130:131]
	scratch_load_b64 v[130:131], off, off offset:344 th:TH_LOAD_LU ; 8-byte Folded Reload
	v_mul_f64_e32 v[126:127], s[18:19], v[173:174]
	v_add_f64_e64 v[124:125], v[245:246], -v[124:125]
	v_add_f64_e32 v[142:143], v[142:143], v[227:228]
	s_wait_loadcnt 0x1
	v_add_f64_e32 v[132:133], v[132:133], v[136:137]
	v_mul_f64_e32 v[136:137], s[44:45], v[205:206]
	s_delay_alu instid0(VALU_DEP_4) | instskip(SKIP_1) | instid1(VALU_DEP_3)
	v_add_f64_e32 v[124:125], v[124:125], v[138:139]
	v_mul_f64_e32 v[138:139], s[2:3], v[201:202]
	v_add_f64_e64 v[136:137], v[251:252], -v[136:137]
	s_delay_alu instid0(VALU_DEP_2) | instskip(SKIP_3) | instid1(VALU_DEP_2)
	v_add_f64_e32 v[138:139], v[138:139], v[243:244]
	s_wait_loadcnt 0x0
	v_add_f64_e32 v[126:127], v[126:127], v[130:131]
	v_mul_f64_e32 v[130:131], s[10:11], v[191:192]
	v_add_f64_e32 v[126:127], v[126:127], v[140:141]
	s_delay_alu instid0(VALU_DEP_2)
	v_add_f64_e64 v[130:131], v[247:248], -v[130:131]
	scratch_load_b64 v[140:141], off, off offset:64 th:TH_LOAD_LU ; 8-byte Folded Reload
	v_add_f64_e32 v[126:127], v[132:133], v[126:127]
	v_add_f64_e32 v[124:125], v[130:131], v[124:125]
	v_mul_f64_e32 v[130:131], s[24:25], v[221:222]
	v_mul_f64_e32 v[132:133], s[22:23], v[211:212]
	s_delay_alu instid0(VALU_DEP_4) | instskip(NEXT) | instid1(VALU_DEP_4)
	v_add_f64_e32 v[126:127], v[142:143], v[126:127]
	v_add_f64_e32 v[124:125], v[136:137], v[124:125]
	scratch_load_b64 v[136:137], off, off offset:376 th:TH_LOAD_LU ; 8-byte Folded Reload
	v_add_f64_e64 v[130:131], v[179:180], -v[130:131]
	scratch_load_b64 v[142:143], off, off offset:96 th:TH_LOAD_LU ; 8-byte Folded Reload
	v_add_f64_e32 v[124:125], v[144:145], v[124:125]
	scratch_load_b64 v[144:145], off, off offset:80 th:TH_LOAD_LU ; 8-byte Folded Reload
	s_wait_loadcnt 0x2
	v_add_f64_e32 v[132:133], v[132:133], v[136:137]
	v_add_f64_e32 v[136:137], v[138:139], v[126:127]
	;; [unrolled: 1-line block ×3, first 2 shown]
	scratch_load_b64 v[138:139], off, off offset:72 th:TH_LOAD_LU ; 8-byte Folded Reload
	v_mul_f64_e32 v[130:131], s[10:11], v[183:184]
	v_add_f64_e32 v[124:125], v[132:133], v[136:137]
	s_clause 0x1
	scratch_load_b64 v[132:133], off, off offset:56 th:TH_LOAD_LU
	scratch_load_b64 v[136:137], off, off offset:40 th:TH_LOAD_LU
	s_wait_loadcnt 0x1
	v_add_f64_e64 v[130:131], v[132:133], -v[130:131]
	v_mul_f64_e32 v[132:133], s[14:15], v[173:174]
	s_delay_alu instid0(VALU_DEP_2) | instskip(SKIP_1) | instid1(VALU_DEP_2)
	v_add_f64_e32 v[128:129], v[130:131], v[128:129]
	s_wait_loadcnt 0x0
	v_add_f64_e32 v[132:133], v[132:133], v[136:137]
	v_mul_f64_e32 v[136:137], s[20:21], v[191:192]
	s_delay_alu instid0(VALU_DEP_2) | instskip(NEXT) | instid1(VALU_DEP_2)
	v_add_f64_e32 v[130:131], v[132:133], v[134:135]
	v_add_f64_e64 v[136:137], v[138:139], -v[136:137]
	v_mul_f64_e32 v[138:139], s[18:19], v[187:188]
	v_mul_f64_e32 v[132:133], s[26:27], v[201:202]
	s_delay_alu instid0(VALU_DEP_3) | instskip(NEXT) | instid1(VALU_DEP_3)
	v_add_f64_e32 v[128:129], v[136:137], v[128:129]
	v_add_f64_e32 v[138:139], v[138:139], v[140:141]
	scratch_load_b64 v[136:137], off, off offset:120 th:TH_LOAD_LU ; 8-byte Folded Reload
	v_mul_f64_e32 v[140:141], s[24:25], v[205:206]
	v_add_f64_e32 v[130:131], v[138:139], v[130:131]
	s_clause 0x1
	scratch_load_b64 v[138:139], off, off offset:104 th:TH_LOAD_LU
	scratch_load_b64 v[134:135], off, off offset:88 th:TH_LOAD_LU
	v_add_f64_e64 v[140:141], v[142:143], -v[140:141]
	v_mul_f64_e32 v[142:143], s[22:23], v[195:196]
	s_delay_alu instid0(VALU_DEP_2) | instskip(NEXT) | instid1(VALU_DEP_2)
	v_add_f64_e32 v[128:129], v[140:141], v[128:129]
	v_add_f64_e32 v[142:143], v[142:143], v[144:145]
	v_mul_f64_e32 v[144:145], s[28:29], v[215:216]
	s_delay_alu instid0(VALU_DEP_2) | instskip(NEXT) | instid1(VALU_DEP_2)
	v_add_f64_e32 v[130:131], v[142:143], v[130:131]
	v_add_f64_e64 v[144:145], v[146:147], -v[144:145]
	s_delay_alu instid0(VALU_DEP_1) | instskip(SKIP_3) | instid1(VALU_DEP_2)
	v_add_f64_e32 v[128:129], v[144:145], v[128:129]
	s_wait_loadcnt 0x0
	v_add_f64_e32 v[132:133], v[132:133], v[134:135]
	v_mul_f64_e32 v[134:135], s[34:35], v[221:222]
	v_add_f64_e32 v[132:133], v[132:133], v[130:131]
	s_delay_alu instid0(VALU_DEP_2) | instskip(SKIP_1) | instid1(VALU_DEP_2)
	v_add_f64_e64 v[134:135], v[136:137], -v[134:135]
	v_mul_f64_e32 v[136:137], s[30:31], v[211:212]
	v_add_f64_e32 v[130:131], v[134:135], v[128:129]
	s_delay_alu instid0(VALU_DEP_2) | instskip(NEXT) | instid1(VALU_DEP_1)
	v_add_f64_e32 v[136:137], v[136:137], v[138:139]
	v_add_f64_e32 v[128:129], v[136:137], v[132:133]
	scratch_load_b32 v132, off, off offset:12 th:TH_LOAD_LU ; 4-byte Folded Reload
	s_wait_loadcnt 0x0
	v_and_b32_e32 v132, 0xffff, v132
	s_delay_alu instid0(VALU_DEP_1)
	v_lshlrev_b32_e32 v132, 4, v132
	ds_store_b128 v132, v[112:115] offset:32
	ds_store_b128 v132, v[116:119] offset:48
	;; [unrolled: 1-line block ×11, first 2 shown]
	ds_store_b128 v132, v[100:103]
	ds_store_b128 v132, v[152:155] offset:192
.LBB0_17:
	s_wait_alu 0xfffe
	s_or_b32 exec_lo, exec_lo, s1
	global_wb scope:SCOPE_SE
	s_wait_dscnt 0x0
	s_barrier_signal -1
	s_barrier_wait -1
	global_inv scope:SCOPE_SE
	ds_load_b128 v[100:103], v255 offset:5824
	ds_load_b128 v[104:107], v255 offset:11648
	;; [unrolled: 1-line block ×6, first 2 shown]
	s_wait_dscnt 0x5
	v_mul_f64_e32 v[124:125], v[30:31], v[102:103]
	s_wait_dscnt 0x4
	v_mul_f64_e32 v[126:127], v[34:35], v[106:107]
	v_mul_f64_e32 v[34:35], v[34:35], v[104:105]
	s_wait_dscnt 0x3
	v_mul_f64_e32 v[128:129], v[26:27], v[110:111]
	s_wait_dscnt 0x2
	v_mul_f64_e32 v[130:131], v[46:47], v[114:115]
	v_mul_f64_e32 v[46:47], v[46:47], v[112:113]
	s_wait_dscnt 0x1
	v_mul_f64_e32 v[132:133], v[42:43], v[118:119]
	;; [unrolled: 3-line block ×3, first 2 shown]
	v_mul_f64_e32 v[30:31], v[30:31], v[100:101]
	v_mul_f64_e32 v[26:27], v[26:27], v[108:109]
	;; [unrolled: 1-line block ×3, first 2 shown]
	v_fma_f64 v[100:101], v[28:29], v[100:101], v[124:125]
	v_fma_f64 v[104:105], v[32:33], v[104:105], v[126:127]
	v_fma_f64 v[32:33], v[32:33], v[106:107], -v[34:35]
	v_fma_f64 v[34:35], v[24:25], v[108:109], v[128:129]
	v_fma_f64 v[108:109], v[44:45], v[112:113], v[130:131]
	v_fma_f64 v[44:45], v[44:45], v[114:115], -v[46:47]
	v_fma_f64 v[46:47], v[40:41], v[116:117], v[132:133]
	v_fma_f64 v[40:41], v[40:41], v[118:119], -v[42:43]
	;; [unrolled: 2-line block ×3, first 2 shown]
	v_fma_f64 v[106:107], v[24:25], v[110:111], -v[26:27]
	ds_load_b128 v[24:27], v255
	ds_load_b128 v[28:31], v255 offset:2912
	global_wb scope:SCOPE_SE
	s_wait_dscnt 0x0
	s_barrier_signal -1
	s_barrier_wait -1
	global_inv scope:SCOPE_SE
	v_fma_f64 v[36:37], v[36:37], v[122:123], -v[38:39]
	v_add_f64_e64 v[104:105], v[24:25], -v[104:105]
	v_add_f64_e64 v[110:111], v[26:27], -v[32:33]
	v_add_f64_e64 v[32:33], v[100:101], -v[34:35]
	v_add_f64_e64 v[46:47], v[28:29], -v[46:47]
	v_add_f64_e64 v[112:113], v[30:31], -v[40:41]
	v_add_f64_e64 v[40:41], v[108:109], -v[42:43]
	v_add_f64_e64 v[34:35], v[102:103], -v[106:107]
	v_add_f64_e64 v[36:37], v[44:45], -v[36:37]
	v_fma_f64 v[106:107], v[24:25], 2.0, -v[104:105]
	v_fma_f64 v[114:115], v[26:27], 2.0, -v[110:111]
	;; [unrolled: 1-line block ×6, first 2 shown]
	scratch_load_b32 v108, off, off offset:24 th:TH_LOAD_LU ; 4-byte Folded Reload
	v_fma_f64 v[38:39], v[102:103], 2.0, -v[34:35]
	v_add_f64_e32 v[28:29], v[104:105], v[34:35]
	v_add_f64_e64 v[30:31], v[110:111], -v[32:33]
	v_fma_f64 v[44:45], v[44:45], 2.0, -v[36:37]
	v_add_f64_e32 v[24:25], v[46:47], v[36:37]
	v_add_f64_e64 v[32:33], v[106:107], -v[26:27]
	v_add_f64_e64 v[26:27], v[112:113], -v[40:41]
	;; [unrolled: 1-line block ×4, first 2 shown]
	v_fma_f64 v[40:41], v[104:105], 2.0, -v[28:29]
	v_fma_f64 v[42:43], v[110:111], 2.0, -v[30:31]
	v_add_f64_e64 v[38:39], v[118:119], -v[44:45]
	v_fma_f64 v[44:45], v[46:47], 2.0, -v[24:25]
	v_fma_f64 v[100:101], v[106:107], 2.0, -v[32:33]
	;; [unrolled: 1-line block ×5, first 2 shown]
	s_wait_loadcnt 0x0
	ds_store_b128 v108, v[32:35] offset:416
	ds_store_b128 v108, v[28:31] offset:624
	ds_store_b128 v108, v[100:103]
	ds_store_b128 v108, v[40:43] offset:208
	scratch_load_b32 v28, off, off offset:16 th:TH_LOAD_LU ; 4-byte Folded Reload
	v_fma_f64 v[106:107], v[118:119], 2.0, -v[38:39]
	s_wait_loadcnt 0x0
	ds_store_b128 v28, v[104:107]
	ds_store_b128 v28, v[44:47] offset:208
	ds_store_b128 v28, v[36:39] offset:416
	;; [unrolled: 1-line block ×3, first 2 shown]
	global_wb scope:SCOPE_SE
	s_wait_dscnt 0x0
	s_barrier_signal -1
	s_barrier_wait -1
	global_inv scope:SCOPE_SE
	ds_load_b128 v[28:31], v255
	ds_load_b128 v[100:103], v255 offset:3328
	ds_load_b128 v[44:47], v255 offset:6656
	;; [unrolled: 1-line block ×6, first 2 shown]
	s_and_saveexec_b32 s1, s0
	s_cbranch_execz .LBB0_19
; %bb.18:
	ds_load_b128 v[24:27], v255 offset:2912
	ds_load_b128 v[168:171], v255 offset:6240
	;; [unrolled: 1-line block ×7, first 2 shown]
.LBB0_19:
	s_wait_alu 0xfffe
	s_or_b32 exec_lo, exec_lo, s1
	s_wait_dscnt 0x5
	v_mul_f64_e32 v[108:109], v[62:63], v[102:103]
	v_mul_f64_e32 v[62:63], v[62:63], v[100:101]
	s_wait_dscnt 0x4
	v_mul_f64_e32 v[110:111], v[58:59], v[46:47]
	v_mul_f64_e32 v[58:59], v[58:59], v[44:45]
	;; [unrolled: 3-line block ×3, first 2 shown]
	v_mul_f64_e32 v[114:115], v[50:51], v[42:43]
	v_mul_f64_e32 v[50:51], v[50:51], v[40:41]
	;; [unrolled: 1-line block ×6, first 2 shown]
	s_mov_b32 s10, 0x37e14327
	s_mov_b32 s16, 0xe976ee23
	;; [unrolled: 1-line block ×16, first 2 shown]
	s_wait_alu 0xfffe
	s_mov_b32 s22, s18
	s_mov_b32 s26, s24
	;; [unrolled: 1-line block ×4, first 2 shown]
	global_wb scope:SCOPE_SE
	s_barrier_signal -1
	s_barrier_wait -1
	global_inv scope:SCOPE_SE
	v_fma_f64 v[100:101], v[60:61], v[100:101], v[108:109]
	v_fma_f64 v[60:61], v[60:61], v[102:103], -v[62:63]
	v_fma_f64 v[44:45], v[56:57], v[44:45], v[110:111]
	v_fma_f64 v[46:47], v[56:57], v[46:47], -v[58:59]
	;; [unrolled: 2-line block ×6, first 2 shown]
	v_add_f64_e32 v[48:49], v[100:101], v[56:57]
	v_add_f64_e32 v[50:51], v[60:61], v[52:53]
	;; [unrolled: 1-line block ×4, first 2 shown]
	v_add_f64_e64 v[40:41], v[44:45], -v[40:41]
	v_add_f64_e64 v[42:43], v[46:47], -v[42:43]
	v_add_f64_e32 v[44:45], v[36:37], v[32:33]
	v_add_f64_e32 v[46:47], v[38:39], v[34:35]
	v_add_f64_e64 v[32:33], v[32:33], -v[36:37]
	v_add_f64_e64 v[34:35], v[34:35], -v[38:39]
	;; [unrolled: 1-line block ×4, first 2 shown]
	v_add_f64_e32 v[52:53], v[54:55], v[48:49]
	v_add_f64_e32 v[56:57], v[58:59], v[50:51]
	v_add_f64_e64 v[60:61], v[48:49], -v[44:45]
	v_add_f64_e64 v[62:63], v[50:51], -v[46:47]
	v_add_f64_e64 v[64:65], v[32:33], -v[40:41]
	v_add_f64_e64 v[66:67], v[34:35], -v[42:43]
	v_add_f64_e64 v[68:69], v[40:41], -v[36:37]
	v_add_f64_e64 v[70:71], v[42:43], -v[38:39]
	v_add_f64_e32 v[40:41], v[32:33], v[40:41]
	v_add_f64_e32 v[42:43], v[34:35], v[42:43]
	v_add_f64_e64 v[32:33], v[36:37], -v[32:33]
	v_add_f64_e64 v[34:35], v[38:39], -v[34:35]
	;; [unrolled: 1-line block ×4, first 2 shown]
	v_add_f64_e32 v[52:53], v[44:45], v[52:53]
	v_add_f64_e32 v[56:57], v[46:47], v[56:57]
	v_add_f64_e64 v[44:45], v[44:45], -v[54:55]
	v_add_f64_e64 v[46:47], v[46:47], -v[58:59]
	v_mul_f64_e32 v[60:61], s[10:11], v[60:61]
	v_mul_f64_e32 v[62:63], s[10:11], v[62:63]
	;; [unrolled: 1-line block ×6, first 2 shown]
	v_add_f64_e32 v[36:37], v[40:41], v[36:37]
	v_add_f64_e32 v[38:39], v[42:43], v[38:39]
	;; [unrolled: 1-line block ×4, first 2 shown]
	v_mul_f64_e32 v[54:55], s[20:21], v[44:45]
	v_mul_f64_e32 v[58:59], s[20:21], v[46:47]
	v_fma_f64 v[40:41], v[44:45], s[20:21], v[60:61]
	v_fma_f64 v[42:43], v[46:47], s[20:21], v[62:63]
	;; [unrolled: 1-line block ×4, first 2 shown]
	v_fma_f64 v[64:65], v[68:69], s[2:3], -v[64:65]
	v_fma_f64 v[66:67], v[70:71], s[2:3], -v[66:67]
	s_wait_alu 0xfffe
	v_fma_f64 v[32:33], v[32:33], s[26:27], -v[100:101]
	v_fma_f64 v[34:35], v[34:35], s[26:27], -v[102:103]
	;; [unrolled: 1-line block ×4, first 2 shown]
	v_fma_f64 v[52:53], v[52:53], s[14:15], v[28:29]
	v_fma_f64 v[56:57], v[56:57], s[14:15], v[30:31]
	v_fma_f64 v[48:49], v[48:49], s[18:19], -v[54:55]
	v_fma_f64 v[50:51], v[50:51], s[18:19], -v[58:59]
	v_fma_f64 v[54:55], v[36:37], s[28:29], v[44:45]
	v_fma_f64 v[58:59], v[38:39], s[28:29], v[46:47]
	;; [unrolled: 1-line block ×6, first 2 shown]
	v_add_f64_e32 v[68:69], v[40:41], v[52:53]
	v_add_f64_e32 v[70:71], v[42:43], v[56:57]
	;; [unrolled: 1-line block ×7, first 2 shown]
	v_add_f64_e64 v[34:35], v[70:71], -v[54:55]
	v_add_f64_e32 v[36:37], v[66:67], v[60:61]
	v_add_f64_e64 v[38:39], v[62:63], -v[64:65]
	v_add_f64_e64 v[40:41], v[48:49], -v[44:45]
	v_add_f64_e32 v[42:43], v[46:47], v[50:51]
	v_add_f64_e32 v[44:45], v[44:45], v[48:49]
	v_add_f64_e64 v[46:47], v[50:51], -v[46:47]
	v_add_f64_e64 v[48:49], v[60:61], -v[66:67]
	v_add_f64_e32 v[50:51], v[64:65], v[62:63]
	v_add_f64_e64 v[52:53], v[68:69], -v[58:59]
	v_add_f64_e32 v[54:55], v[54:55], v[70:71]
	ds_store_b128 v172, v[28:31]
	ds_store_b128 v172, v[32:35] offset:832
	ds_store_b128 v172, v[36:39] offset:1664
	;; [unrolled: 1-line block ×6, first 2 shown]
	s_and_saveexec_b32 s1, s0
	s_cbranch_execz .LBB0_21
; %bb.20:
	v_mul_f64_e32 v[28:29], v[10:11], v[96:97]
	v_mul_f64_e32 v[30:31], v[6:7], v[168:169]
	;; [unrolled: 1-line block ×12, first 2 shown]
	v_fma_f64 v[28:29], v[8:9], v[98:99], -v[28:29]
	v_fma_f64 v[30:31], v[4:5], v[170:171], -v[30:31]
	;; [unrolled: 1-line block ×4, first 2 shown]
	v_fma_f64 v[4:5], v[4:5], v[168:169], v[6:7]
	v_fma_f64 v[6:7], v[8:9], v[96:97], v[10:11]
	;; [unrolled: 1-line block ×6, first 2 shown]
	v_fma_f64 v[16:17], v[16:17], v[162:163], -v[18:19]
	v_fma_f64 v[12:13], v[12:13], v[158:159], -v[14:15]
	v_add_f64_e32 v[14:15], v[30:31], v[28:29]
	v_add_f64_e32 v[18:19], v[34:35], v[32:33]
	;; [unrolled: 1-line block ×3, first 2 shown]
	v_add_f64_e64 v[4:5], v[4:5], -v[6:7]
	v_add_f64_e32 v[22:23], v[0:1], v[2:3]
	v_add_f64_e64 v[0:1], v[0:1], -v[2:3]
	v_add_f64_e64 v[36:37], v[8:9], -v[10:11]
	v_add_f64_e32 v[8:9], v[10:11], v[8:9]
	v_add_f64_e32 v[2:3], v[16:17], v[12:13]
	v_add_f64_e64 v[10:11], v[12:13], -v[16:17]
	v_add_f64_e64 v[12:13], v[34:35], -v[32:33]
	;; [unrolled: 1-line block ×3, first 2 shown]
	v_add_f64_e32 v[6:7], v[18:19], v[14:15]
	v_add_f64_e32 v[28:29], v[22:23], v[20:21]
	v_add_f64_e64 v[38:39], v[0:1], -v[4:5]
	v_add_f64_e64 v[30:31], v[36:37], -v[0:1]
	;; [unrolled: 1-line block ×8, first 2 shown]
	v_add_f64_e32 v[36:37], v[36:37], v[0:1]
	v_add_f64_e32 v[12:13], v[10:11], v[12:13]
	v_add_f64_e64 v[10:11], v[16:17], -v[10:11]
	v_add_f64_e64 v[14:15], v[18:19], -v[14:15]
	;; [unrolled: 1-line block ×3, first 2 shown]
	v_add_f64_e32 v[6:7], v[2:3], v[6:7]
	v_add_f64_e32 v[28:29], v[8:9], v[28:29]
	v_add_f64_e64 v[8:9], v[8:9], -v[22:23]
	v_mul_f64_e32 v[30:31], s[16:17], v[30:31]
	v_mul_f64_e32 v[34:35], s[10:11], v[34:35]
	;; [unrolled: 1-line block ×5, first 2 shown]
	v_add_f64_e32 v[4:5], v[36:37], v[4:5]
	v_add_f64_e32 v[12:13], v[12:13], v[16:17]
	;; [unrolled: 1-line block ×3, first 2 shown]
	v_mul_f64_e32 v[26:27], s[16:17], v[42:43]
	v_mul_f64_e32 v[42:43], s[2:3], v[44:45]
	v_add_f64_e32 v[0:1], v[24:25], v[28:29]
	v_mul_f64_e32 v[22:23], s[20:21], v[8:9]
	v_fma_f64 v[16:17], v[46:47], s[24:25], v[30:31]
	v_fma_f64 v[8:9], v[8:9], s[20:21], v[34:35]
	;; [unrolled: 1-line block ×3, first 2 shown]
	v_fma_f64 v[36:37], v[46:47], s[26:27], -v[48:49]
	v_fma_f64 v[32:33], v[14:15], s[22:23], -v[32:33]
	;; [unrolled: 1-line block ×5, first 2 shown]
	v_fma_f64 v[6:7], v[6:7], s[14:15], v[2:3]
	v_fma_f64 v[18:19], v[10:11], s[24:25], v[26:27]
	v_fma_f64 v[10:11], v[10:11], s[26:27], -v[42:43]
	v_fma_f64 v[26:27], v[44:45], s[2:3], -v[26:27]
	v_fma_f64 v[28:29], v[28:29], s[14:15], v[0:1]
	v_fma_f64 v[20:21], v[20:21], s[18:19], -v[22:23]
	v_fma_f64 v[16:17], v[4:5], s[28:29], v[16:17]
	v_fma_f64 v[22:23], v[4:5], s[28:29], v[36:37]
	;; [unrolled: 1-line block ×3, first 2 shown]
	v_add_f64_e32 v[24:25], v[24:25], v[6:7]
	v_fma_f64 v[36:37], v[12:13], s[28:29], v[18:19]
	v_fma_f64 v[38:39], v[12:13], s[28:29], v[10:11]
	;; [unrolled: 1-line block ×3, first 2 shown]
	v_add_f64_e32 v[40:41], v[8:9], v[28:29]
	v_add_f64_e32 v[8:9], v[34:35], v[28:29]
	;; [unrolled: 1-line block ×6, first 2 shown]
	v_add_f64_e64 v[26:27], v[24:25], -v[16:17]
	v_add_f64_e32 v[24:25], v[36:37], v[40:41]
	v_add_f64_e32 v[20:21], v[38:39], v[8:9]
	v_add_f64_e64 v[16:17], v[28:29], -v[12:13]
	v_add_f64_e32 v[12:13], v[12:13], v[28:29]
	scratch_load_b32 v28, off, off offset:32 th:TH_LOAD_LU ; 4-byte Folded Reload
	v_add_f64_e32 v[10:11], v[22:23], v[30:31]
	v_add_f64_e64 v[22:23], v[30:31], -v[22:23]
	v_add_f64_e32 v[18:19], v[4:5], v[32:33]
	v_add_f64_e64 v[14:15], v[32:33], -v[4:5]
	v_add_f64_e64 v[8:9], v[8:9], -v[38:39]
	;; [unrolled: 1-line block ×3, first 2 shown]
	s_wait_loadcnt 0x0
	v_lshlrev_b32_e32 v28, 4, v28
	ds_store_b128 v28, v[0:3] offset:17472
	ds_store_b128 v28, v[24:27] offset:18304
	;; [unrolled: 1-line block ×7, first 2 shown]
.LBB0_21:
	s_wait_alu 0xfffe
	s_or_b32 exec_lo, exec_lo, s1
	global_wb scope:SCOPE_SE
	s_wait_dscnt 0x0
	s_barrier_signal -1
	s_barrier_wait -1
	global_inv scope:SCOPE_SE
	ds_load_b128 v[0:3], v255 offset:11648
	ds_load_b128 v[4:7], v255 offset:14560
	;; [unrolled: 1-line block ×4, first 2 shown]
	s_wait_dscnt 0x3
	v_mul_f64_e32 v[16:17], v[74:75], v[2:3]
	v_mul_f64_e32 v[18:19], v[74:75], v[0:1]
	s_wait_dscnt 0x2
	v_mul_f64_e32 v[20:21], v[78:79], v[6:7]
	v_mul_f64_e32 v[22:23], v[78:79], v[4:5]
	;; [unrolled: 3-line block ×4, first 2 shown]
	v_fma_f64 v[16:17], v[72:73], v[0:1], v[16:17]
	v_fma_f64 v[18:19], v[72:73], v[2:3], -v[18:19]
	v_fma_f64 v[20:21], v[76:77], v[4:5], v[20:21]
	v_fma_f64 v[22:23], v[76:77], v[6:7], -v[22:23]
	;; [unrolled: 2-line block ×4, first 2 shown]
	ds_load_b128 v[0:3], v255
	ds_load_b128 v[4:7], v255 offset:2912
	ds_load_b128 v[8:11], v255 offset:5824
	;; [unrolled: 1-line block ×3, first 2 shown]
	global_wb scope:SCOPE_SE
	s_wait_dscnt 0x0
	s_barrier_signal -1
	s_barrier_wait -1
	global_inv scope:SCOPE_SE
	v_add_f64_e64 v[16:17], v[0:1], -v[16:17]
	v_add_f64_e64 v[18:19], v[2:3], -v[18:19]
	;; [unrolled: 1-line block ×8, first 2 shown]
	v_fma_f64 v[0:1], v[0:1], 2.0, -v[16:17]
	v_fma_f64 v[2:3], v[2:3], 2.0, -v[18:19]
	;; [unrolled: 1-line block ×8, first 2 shown]
	ds_store_b128 v255, v[16:19] offset:5824
	ds_store_b128 v255, v[20:23] offset:8736
	;; [unrolled: 1-line block ×4, first 2 shown]
	ds_store_b128 v255, v[0:3]
	ds_store_b128 v255, v[4:7] offset:2912
	ds_store_b128 v255, v[8:11] offset:11648
	ds_store_b128 v255, v[12:15] offset:14560
	global_wb scope:SCOPE_SE
	s_wait_dscnt 0x0
	s_barrier_signal -1
	s_barrier_wait -1
	global_inv scope:SCOPE_SE
	ds_load_b128 v[0:3], v255 offset:11648
	ds_load_b128 v[4:7], v255 offset:14560
	;; [unrolled: 1-line block ×4, first 2 shown]
	s_wait_dscnt 0x3
	v_mul_f64_e32 v[16:17], v[82:83], v[2:3]
	v_mul_f64_e32 v[18:19], v[82:83], v[0:1]
	s_wait_dscnt 0x2
	v_mul_f64_e32 v[20:21], v[86:87], v[6:7]
	v_mul_f64_e32 v[22:23], v[86:87], v[4:5]
	;; [unrolled: 3-line block ×4, first 2 shown]
	v_fma_f64 v[16:17], v[80:81], v[0:1], v[16:17]
	v_fma_f64 v[18:19], v[80:81], v[2:3], -v[18:19]
	v_fma_f64 v[20:21], v[84:85], v[4:5], v[20:21]
	v_fma_f64 v[22:23], v[84:85], v[6:7], -v[22:23]
	;; [unrolled: 2-line block ×4, first 2 shown]
	ds_load_b128 v[0:3], v255
	ds_load_b128 v[4:7], v255 offset:2912
	ds_load_b128 v[8:11], v255 offset:5824
	;; [unrolled: 1-line block ×3, first 2 shown]
	s_wait_dscnt 0x3
	v_add_f64_e64 v[16:17], v[0:1], -v[16:17]
	v_add_f64_e64 v[18:19], v[2:3], -v[18:19]
	s_wait_dscnt 0x2
	v_add_f64_e64 v[20:21], v[4:5], -v[20:21]
	v_add_f64_e64 v[22:23], v[6:7], -v[22:23]
	;; [unrolled: 3-line block ×4, first 2 shown]
	v_fma_f64 v[0:1], v[0:1], 2.0, -v[16:17]
	v_fma_f64 v[2:3], v[2:3], 2.0, -v[18:19]
	;; [unrolled: 1-line block ×8, first 2 shown]
	ds_store_b128 v255, v[16:19] offset:11648
	ds_store_b128 v255, v[20:23] offset:14560
	ds_store_b128 v255, v[24:27] offset:17472
	ds_store_b128 v255, v[28:31] offset:20384
	ds_store_b128 v255, v[0:3]
	ds_store_b128 v255, v[4:7] offset:2912
	ds_store_b128 v255, v[8:11] offset:5824
	;; [unrolled: 1-line block ×3, first 2 shown]
	global_wb scope:SCOPE_SE
	s_wait_dscnt 0x0
	s_barrier_signal -1
	s_barrier_wait -1
	global_inv scope:SCOPE_SE
	s_and_b32 exec_lo, exec_lo, vcc_lo
	s_cbranch_execz .LBB0_23
; %bb.22:
	s_clause 0xc
	global_load_b128 v[0:3], v255, s[12:13]
	global_load_b128 v[4:7], v255, s[12:13] offset:1792
	global_load_b128 v[8:11], v255, s[12:13] offset:3584
	;; [unrolled: 1-line block ×12, first 2 shown]
	s_clause 0x1
	scratch_load_b64 v[52:53], off, off offset:4 th:TH_LOAD_LU
	scratch_load_b32 v57, off, off th:TH_LOAD_LU
	s_mul_u64 s[0:1], s[4:5], 0x700
	s_mov_b32 s2, 0x16816817
	s_mov_b32 s3, 0x3f468168
	s_wait_loadcnt 0x0
	v_mad_co_u64_u32 v[60:61], null, s4, v57, 0
	s_delay_alu instid0(VALU_DEP_1) | instskip(NEXT) | instid1(VALU_DEP_1)
	v_dual_mov_b32 v55, v52 :: v_dual_mov_b32 v54, v61
	v_mad_co_u64_u32 v[52:53], null, s6, v55, 0
	s_delay_alu instid0(VALU_DEP_1) | instskip(NEXT) | instid1(VALU_DEP_1)
	v_mad_co_u64_u32 v[55:56], null, s7, v55, v[53:54]
	v_mad_co_u64_u32 v[56:57], null, s5, v57, v[54:55]
	v_mov_b32_e32 v53, v55
	s_delay_alu instid0(VALU_DEP_1) | instskip(NEXT) | instid1(VALU_DEP_3)
	v_lshlrev_b64_e32 v[62:63], 4, v[52:53]
	v_mov_b32_e32 v61, v56
	ds_load_b128 v[52:55], v255
	ds_load_b128 v[56:59], v255 offset:1792
	v_add_co_u32 v148, vcc_lo, s8, v62
	v_lshlrev_b64_e32 v[68:69], 4, v[60:61]
	v_add_co_ci_u32_e32 v149, vcc_lo, s9, v63, vcc_lo
	ds_load_b128 v[60:63], v255 offset:3584
	ds_load_b128 v[64:67], v255 offset:5376
	v_add_co_u32 v104, vcc_lo, v148, v68
	s_wait_alu 0xfffd
	v_add_co_ci_u32_e32 v105, vcc_lo, v149, v69, vcc_lo
	ds_load_b128 v[68:71], v255 offset:7168
	ds_load_b128 v[72:75], v255 offset:8960
	;; [unrolled: 1-line block ×9, first 2 shown]
	s_wait_dscnt 0xc
	v_mul_f64_e32 v[116:117], v[54:55], v[2:3]
	v_mul_f64_e32 v[2:3], v[52:53], v[2:3]
	s_wait_dscnt 0xb
	v_mul_f64_e32 v[118:119], v[58:59], v[6:7]
	v_mul_f64_e32 v[6:7], v[56:57], v[6:7]
	s_wait_alu 0xfffe
	v_add_co_u32 v106, vcc_lo, v104, s0
	s_wait_alu 0xfffd
	v_add_co_ci_u32_e32 v107, vcc_lo, s1, v105, vcc_lo
	s_wait_dscnt 0xa
	v_mul_f64_e32 v[120:121], v[62:63], v[10:11]
	v_mul_f64_e32 v[10:11], v[60:61], v[10:11]
	s_wait_dscnt 0x9
	v_mul_f64_e32 v[122:123], v[66:67], v[14:15]
	v_mul_f64_e32 v[14:15], v[64:65], v[14:15]
	v_add_co_u32 v108, vcc_lo, v106, s0
	s_wait_dscnt 0x8
	v_mul_f64_e32 v[124:125], v[70:71], v[18:19]
	v_mul_f64_e32 v[18:19], v[68:69], v[18:19]
	s_wait_dscnt 0x5
	v_mul_f64_e32 v[130:131], v[82:83], v[30:31]
	v_mul_f64_e32 v[30:31], v[80:81], v[30:31]
	;; [unrolled: 1-line block ×6, first 2 shown]
	s_wait_dscnt 0x4
	v_mul_f64_e32 v[132:133], v[86:87], v[34:35]
	v_mul_f64_e32 v[34:35], v[84:85], v[34:35]
	s_wait_dscnt 0x3
	v_mul_f64_e32 v[134:135], v[90:91], v[38:39]
	v_mul_f64_e32 v[38:39], v[88:89], v[38:39]
	;; [unrolled: 3-line block ×5, first 2 shown]
	s_wait_alu 0xfffd
	v_add_co_ci_u32_e32 v109, vcc_lo, s1, v107, vcc_lo
	v_add_co_u32 v110, vcc_lo, v108, s0
	s_wait_alu 0xfffd
	s_delay_alu instid0(VALU_DEP_2)
	v_add_co_ci_u32_e32 v111, vcc_lo, s1, v109, vcc_lo
	v_fma_f64 v[52:53], v[52:53], v[0:1], v[116:117]
	v_fma_f64 v[2:3], v[0:1], v[54:55], -v[2:3]
	v_fma_f64 v[54:55], v[56:57], v[4:5], v[118:119]
	v_fma_f64 v[6:7], v[4:5], v[58:59], -v[6:7]
	v_add_co_u32 v112, vcc_lo, v110, s0
	s_wait_alu 0xfffd
	v_add_co_ci_u32_e32 v113, vcc_lo, s1, v111, vcc_lo
	v_fma_f64 v[56:57], v[60:61], v[8:9], v[120:121]
	v_fma_f64 v[10:11], v[8:9], v[62:63], -v[10:11]
	v_fma_f64 v[58:59], v[64:65], v[12:13], v[122:123]
	v_fma_f64 v[14:15], v[12:13], v[66:67], -v[14:15]
	v_add_co_u32 v114, vcc_lo, v112, s0
	v_fma_f64 v[60:61], v[68:69], v[16:17], v[124:125]
	v_fma_f64 v[18:19], v[16:17], v[70:71], -v[18:19]
	v_fma_f64 v[30:31], v[28:29], v[82:83], -v[30:31]
	scratch_load_b32 v82, off, off offset:36 th:TH_LOAD_LU ; 4-byte Folded Reload
	v_fma_f64 v[62:63], v[72:73], v[20:21], v[126:127]
	v_fma_f64 v[22:23], v[20:21], v[74:75], -v[22:23]
	v_fma_f64 v[64:65], v[76:77], v[24:25], v[128:129]
	v_fma_f64 v[26:27], v[24:25], v[78:79], -v[26:27]
	v_fma_f64 v[66:67], v[80:81], v[28:29], v[130:131]
	v_fma_f64 v[68:69], v[84:85], v[32:33], v[132:133]
	v_fma_f64 v[34:35], v[32:33], v[86:87], -v[34:35]
	v_fma_f64 v[70:71], v[88:89], v[36:37], v[134:135]
	v_fma_f64 v[38:39], v[36:37], v[90:91], -v[38:39]
	s_wait_alu 0xfffd
	v_add_co_ci_u32_e32 v115, vcc_lo, s1, v113, vcc_lo
	v_fma_f64 v[72:73], v[92:93], v[40:41], v[136:137]
	v_fma_f64 v[42:43], v[40:41], v[94:95], -v[42:43]
	v_fma_f64 v[74:75], v[96:97], v[44:45], v[138:139]
	v_fma_f64 v[46:47], v[44:45], v[98:99], -v[46:47]
	;; [unrolled: 2-line block ×3, first 2 shown]
	v_add_co_u32 v142, vcc_lo, v114, s0
	s_wait_alu 0xfffd
	v_add_co_ci_u32_e32 v143, vcc_lo, s1, v115, vcc_lo
	v_mul_f64_e32 v[2:3], s[2:3], v[2:3]
	s_delay_alu instid0(VALU_DEP_3) | instskip(SKIP_1) | instid1(VALU_DEP_3)
	v_add_co_u32 v144, vcc_lo, v142, s0
	s_wait_alu 0xfffd
	v_add_co_ci_u32_e32 v145, vcc_lo, s1, v143, vcc_lo
	v_mul_f64_e32 v[4:5], s[2:3], v[54:55]
	v_mul_f64_e32 v[6:7], s[2:3], v[6:7]
	;; [unrolled: 1-line block ×3, first 2 shown]
	s_delay_alu instid0(VALU_DEP_4)
	v_mad_co_u64_u32 v[146:147], null, 0xe00, s4, v[144:145]
	v_mul_f64_e32 v[10:11], s[2:3], v[10:11]
	v_mul_f64_e32 v[12:13], s[2:3], v[58:59]
	;; [unrolled: 1-line block ×6, first 2 shown]
	v_mov_b32_e32 v0, v147
	v_mul_f64_e32 v[20:21], s[2:3], v[62:63]
	v_mul_f64_e32 v[22:23], s[2:3], v[22:23]
	;; [unrolled: 1-line block ×4, first 2 shown]
	v_mad_co_u64_u32 v[80:81], null, 0xe00, s5, v[0:1]
	v_mul_f64_e32 v[0:1], s[2:3], v[52:53]
	v_mul_f64_e32 v[28:29], s[2:3], v[66:67]
	;; [unrolled: 1-line block ×12, first 2 shown]
	v_mov_b32_e32 v147, v80
	s_wait_loadcnt 0x0
	v_mad_co_u64_u32 v[78:79], null, s4, v82, 0
	s_delay_alu instid0(VALU_DEP_1) | instskip(NEXT) | instid1(VALU_DEP_1)
	v_mad_co_u64_u32 v[52:53], null, s5, v82, v[79:80]
	v_mov_b32_e32 v79, v52
	v_add_co_u32 v52, vcc_lo, v146, s0
	s_wait_alu 0xfffd
	v_add_co_ci_u32_e32 v53, vcc_lo, s1, v147, vcc_lo
	s_delay_alu instid0(VALU_DEP_3) | instskip(NEXT) | instid1(VALU_DEP_3)
	v_lshlrev_b64_e32 v[54:55], 4, v[78:79]
	v_add_co_u32 v56, vcc_lo, v52, s0
	s_wait_alu 0xfffd
	s_delay_alu instid0(VALU_DEP_3) | instskip(NEXT) | instid1(VALU_DEP_3)
	v_add_co_ci_u32_e32 v57, vcc_lo, s1, v53, vcc_lo
	v_add_co_u32 v54, vcc_lo, v148, v54
	s_wait_alu 0xfffd
	v_add_co_ci_u32_e32 v55, vcc_lo, v149, v55, vcc_lo
	v_add_co_u32 v58, vcc_lo, v56, s0
	s_wait_alu 0xfffd
	v_add_co_ci_u32_e32 v59, vcc_lo, s1, v57, vcc_lo
	s_clause 0x4
	global_store_b128 v[104:105], v[0:3], off
	global_store_b128 v[106:107], v[4:7], off
	;; [unrolled: 1-line block ×13, first 2 shown]
.LBB0_23:
	s_endpgm
	.section	.rodata,"a",@progbits
	.p2align	6, 0x0
	.amdhsa_kernel bluestein_single_back_len1456_dim1_dp_op_CI_CI
		.amdhsa_group_segment_fixed_size 23296
		.amdhsa_private_segment_fixed_size 396
		.amdhsa_kernarg_size 104
		.amdhsa_user_sgpr_count 2
		.amdhsa_user_sgpr_dispatch_ptr 0
		.amdhsa_user_sgpr_queue_ptr 0
		.amdhsa_user_sgpr_kernarg_segment_ptr 1
		.amdhsa_user_sgpr_dispatch_id 0
		.amdhsa_user_sgpr_private_segment_size 0
		.amdhsa_wavefront_size32 1
		.amdhsa_uses_dynamic_stack 0
		.amdhsa_enable_private_segment 1
		.amdhsa_system_sgpr_workgroup_id_x 1
		.amdhsa_system_sgpr_workgroup_id_y 0
		.amdhsa_system_sgpr_workgroup_id_z 0
		.amdhsa_system_sgpr_workgroup_info 0
		.amdhsa_system_vgpr_workitem_id 0
		.amdhsa_next_free_vgpr 256
		.amdhsa_next_free_sgpr 48
		.amdhsa_reserve_vcc 1
		.amdhsa_float_round_mode_32 0
		.amdhsa_float_round_mode_16_64 0
		.amdhsa_float_denorm_mode_32 3
		.amdhsa_float_denorm_mode_16_64 3
		.amdhsa_fp16_overflow 0
		.amdhsa_workgroup_processor_mode 1
		.amdhsa_memory_ordered 1
		.amdhsa_forward_progress 0
		.amdhsa_round_robin_scheduling 0
		.amdhsa_exception_fp_ieee_invalid_op 0
		.amdhsa_exception_fp_denorm_src 0
		.amdhsa_exception_fp_ieee_div_zero 0
		.amdhsa_exception_fp_ieee_overflow 0
		.amdhsa_exception_fp_ieee_underflow 0
		.amdhsa_exception_fp_ieee_inexact 0
		.amdhsa_exception_int_div_zero 0
	.end_amdhsa_kernel
	.text
.Lfunc_end0:
	.size	bluestein_single_back_len1456_dim1_dp_op_CI_CI, .Lfunc_end0-bluestein_single_back_len1456_dim1_dp_op_CI_CI
                                        ; -- End function
	.section	.AMDGPU.csdata,"",@progbits
; Kernel info:
; codeLenInByte = 18768
; NumSgprs: 50
; NumVgprs: 256
; ScratchSize: 396
; MemoryBound: 0
; FloatMode: 240
; IeeeMode: 1
; LDSByteSize: 23296 bytes/workgroup (compile time only)
; SGPRBlocks: 6
; VGPRBlocks: 31
; NumSGPRsForWavesPerEU: 50
; NumVGPRsForWavesPerEU: 256
; Occupancy: 5
; WaveLimiterHint : 1
; COMPUTE_PGM_RSRC2:SCRATCH_EN: 1
; COMPUTE_PGM_RSRC2:USER_SGPR: 2
; COMPUTE_PGM_RSRC2:TRAP_HANDLER: 0
; COMPUTE_PGM_RSRC2:TGID_X_EN: 1
; COMPUTE_PGM_RSRC2:TGID_Y_EN: 0
; COMPUTE_PGM_RSRC2:TGID_Z_EN: 0
; COMPUTE_PGM_RSRC2:TIDIG_COMP_CNT: 0
	.text
	.p2alignl 7, 3214868480
	.fill 96, 4, 3214868480
	.type	__hip_cuid_affed2a85d898d3,@object ; @__hip_cuid_affed2a85d898d3
	.section	.bss,"aw",@nobits
	.globl	__hip_cuid_affed2a85d898d3
__hip_cuid_affed2a85d898d3:
	.byte	0                               ; 0x0
	.size	__hip_cuid_affed2a85d898d3, 1

	.ident	"AMD clang version 19.0.0git (https://github.com/RadeonOpenCompute/llvm-project roc-6.4.0 25133 c7fe45cf4b819c5991fe208aaa96edf142730f1d)"
	.section	".note.GNU-stack","",@progbits
	.addrsig
	.addrsig_sym __hip_cuid_affed2a85d898d3
	.amdgpu_metadata
---
amdhsa.kernels:
  - .args:
      - .actual_access:  read_only
        .address_space:  global
        .offset:         0
        .size:           8
        .value_kind:     global_buffer
      - .actual_access:  read_only
        .address_space:  global
        .offset:         8
        .size:           8
        .value_kind:     global_buffer
      - .actual_access:  read_only
        .address_space:  global
        .offset:         16
        .size:           8
        .value_kind:     global_buffer
      - .actual_access:  read_only
        .address_space:  global
        .offset:         24
        .size:           8
        .value_kind:     global_buffer
      - .actual_access:  read_only
        .address_space:  global
        .offset:         32
        .size:           8
        .value_kind:     global_buffer
      - .offset:         40
        .size:           8
        .value_kind:     by_value
      - .address_space:  global
        .offset:         48
        .size:           8
        .value_kind:     global_buffer
      - .address_space:  global
        .offset:         56
        .size:           8
        .value_kind:     global_buffer
      - .address_space:  global
        .offset:         64
        .size:           8
        .value_kind:     global_buffer
      - .address_space:  global
        .offset:         72
        .size:           8
        .value_kind:     global_buffer
      - .offset:         80
        .size:           4
        .value_kind:     by_value
      - .address_space:  global
        .offset:         88
        .size:           8
        .value_kind:     global_buffer
      - .address_space:  global
        .offset:         96
        .size:           8
        .value_kind:     global_buffer
    .group_segment_fixed_size: 23296
    .kernarg_segment_align: 8
    .kernarg_segment_size: 104
    .language:       OpenCL C
    .language_version:
      - 2
      - 0
    .max_flat_workgroup_size: 182
    .name:           bluestein_single_back_len1456_dim1_dp_op_CI_CI
    .private_segment_fixed_size: 396
    .sgpr_count:     50
    .sgpr_spill_count: 0
    .symbol:         bluestein_single_back_len1456_dim1_dp_op_CI_CI.kd
    .uniform_work_group_size: 1
    .uses_dynamic_stack: false
    .vgpr_count:     256
    .vgpr_spill_count: 100
    .wavefront_size: 32
    .workgroup_processor_mode: 1
amdhsa.target:   amdgcn-amd-amdhsa--gfx1201
amdhsa.version:
  - 1
  - 2
...

	.end_amdgpu_metadata
